;; amdgpu-corpus repo=ROCm/rocSPARSE kind=compiled arch=gfx1030 opt=O3
	.amdgcn_target "amdgcn-amd-amdhsa--gfx1030"
	.amdhsa_code_object_version 6
	.section	.text._ZN9rocsparseL39csr2bsr_nnz_block_dim_equals_one_kernelILj256EiiEEvT1_21rocsparse_index_base_PKT0_S2_PS3_S6_,"axG",@progbits,_ZN9rocsparseL39csr2bsr_nnz_block_dim_equals_one_kernelILj256EiiEEvT1_21rocsparse_index_base_PKT0_S2_PS3_S6_,comdat
	.globl	_ZN9rocsparseL39csr2bsr_nnz_block_dim_equals_one_kernelILj256EiiEEvT1_21rocsparse_index_base_PKT0_S2_PS3_S6_ ; -- Begin function _ZN9rocsparseL39csr2bsr_nnz_block_dim_equals_one_kernelILj256EiiEEvT1_21rocsparse_index_base_PKT0_S2_PS3_S6_
	.p2align	8
	.type	_ZN9rocsparseL39csr2bsr_nnz_block_dim_equals_one_kernelILj256EiiEEvT1_21rocsparse_index_base_PKT0_S2_PS3_S6_,@function
_ZN9rocsparseL39csr2bsr_nnz_block_dim_equals_one_kernelILj256EiiEEvT1_21rocsparse_index_base_PKT0_S2_PS3_S6_: ; @_ZN9rocsparseL39csr2bsr_nnz_block_dim_equals_one_kernelILj256EiiEEvT1_21rocsparse_index_base_PKT0_S2_PS3_S6_
; %bb.0:
	s_clause 0x1
	s_load_dword s7, s[4:5], 0x34
	s_load_dwordx4 s[0:3], s[4:5], 0x0
	s_waitcnt lgkmcnt(0)
	s_and_b32 s7, s7, 0xffff
	v_mad_u64_u32 v[0:1], null, s6, s7, v[0:1]
	s_mov_b32 s6, exec_lo
	v_cmpx_ge_i32_e64 s0, v0
	s_cbranch_execz .LBB0_2
; %bb.1:
	v_ashrrev_i32_e32 v1, 31, v0
	v_lshlrev_b64 v[1:2], 2, v[0:1]
	v_add_co_u32 v3, vcc_lo, s2, v1
	v_add_co_ci_u32_e64 v4, null, s3, v2, vcc_lo
	global_load_dword v3, v[3:4], off
	s_clause 0x1
	s_load_dword s7, s[4:5], 0x10
	s_load_dwordx2 s[8:9], s[4:5], 0x18
	s_waitcnt lgkmcnt(0)
	s_sub_i32 s1, s7, s1
	v_add_co_u32 v1, vcc_lo, s8, v1
	v_add_co_ci_u32_e64 v2, null, s9, v2, vcc_lo
	s_waitcnt vmcnt(0)
	v_add_nc_u32_e32 v3, s1, v3
	global_store_dword v[1:2], v3, off
.LBB0_2:
	s_or_b32 exec_lo, exec_lo, s6
	s_mov_b32 s1, exec_lo
	v_cmpx_eq_u32_e32 0, v0
	s_cbranch_execz .LBB0_4
; %bb.3:
	s_ashr_i32 s1, s0, 31
	v_mov_b32_e32 v0, 0
	s_lshl_b64 s[0:1], s[0:1], 2
	s_add_u32 s0, s2, s0
	s_addc_u32 s1, s3, s1
	s_clause 0x1
	s_load_dword s6, s[0:1], 0x0
	s_load_dword s2, s[2:3], 0x0
	s_load_dwordx2 s[0:1], s[4:5], 0x20
	s_waitcnt lgkmcnt(0)
	s_sub_i32 s2, s6, s2
	v_mov_b32_e32 v1, s2
	global_store_dword v0, v1, s[0:1]
.LBB0_4:
	s_endpgm
	.section	.rodata,"a",@progbits
	.p2align	6, 0x0
	.amdhsa_kernel _ZN9rocsparseL39csr2bsr_nnz_block_dim_equals_one_kernelILj256EiiEEvT1_21rocsparse_index_base_PKT0_S2_PS3_S6_
		.amdhsa_group_segment_fixed_size 0
		.amdhsa_private_segment_fixed_size 0
		.amdhsa_kernarg_size 296
		.amdhsa_user_sgpr_count 6
		.amdhsa_user_sgpr_private_segment_buffer 1
		.amdhsa_user_sgpr_dispatch_ptr 0
		.amdhsa_user_sgpr_queue_ptr 0
		.amdhsa_user_sgpr_kernarg_segment_ptr 1
		.amdhsa_user_sgpr_dispatch_id 0
		.amdhsa_user_sgpr_flat_scratch_init 0
		.amdhsa_user_sgpr_private_segment_size 0
		.amdhsa_wavefront_size32 1
		.amdhsa_uses_dynamic_stack 0
		.amdhsa_system_sgpr_private_segment_wavefront_offset 0
		.amdhsa_system_sgpr_workgroup_id_x 1
		.amdhsa_system_sgpr_workgroup_id_y 0
		.amdhsa_system_sgpr_workgroup_id_z 0
		.amdhsa_system_sgpr_workgroup_info 0
		.amdhsa_system_vgpr_workitem_id 0
		.amdhsa_next_free_vgpr 5
		.amdhsa_next_free_sgpr 10
		.amdhsa_reserve_vcc 1
		.amdhsa_reserve_flat_scratch 0
		.amdhsa_float_round_mode_32 0
		.amdhsa_float_round_mode_16_64 0
		.amdhsa_float_denorm_mode_32 3
		.amdhsa_float_denorm_mode_16_64 3
		.amdhsa_dx10_clamp 1
		.amdhsa_ieee_mode 1
		.amdhsa_fp16_overflow 0
		.amdhsa_workgroup_processor_mode 1
		.amdhsa_memory_ordered 1
		.amdhsa_forward_progress 1
		.amdhsa_shared_vgpr_count 0
		.amdhsa_exception_fp_ieee_invalid_op 0
		.amdhsa_exception_fp_denorm_src 0
		.amdhsa_exception_fp_ieee_div_zero 0
		.amdhsa_exception_fp_ieee_overflow 0
		.amdhsa_exception_fp_ieee_underflow 0
		.amdhsa_exception_fp_ieee_inexact 0
		.amdhsa_exception_int_div_zero 0
	.end_amdhsa_kernel
	.section	.text._ZN9rocsparseL39csr2bsr_nnz_block_dim_equals_one_kernelILj256EiiEEvT1_21rocsparse_index_base_PKT0_S2_PS3_S6_,"axG",@progbits,_ZN9rocsparseL39csr2bsr_nnz_block_dim_equals_one_kernelILj256EiiEEvT1_21rocsparse_index_base_PKT0_S2_PS3_S6_,comdat
.Lfunc_end0:
	.size	_ZN9rocsparseL39csr2bsr_nnz_block_dim_equals_one_kernelILj256EiiEEvT1_21rocsparse_index_base_PKT0_S2_PS3_S6_, .Lfunc_end0-_ZN9rocsparseL39csr2bsr_nnz_block_dim_equals_one_kernelILj256EiiEEvT1_21rocsparse_index_base_PKT0_S2_PS3_S6_
                                        ; -- End function
	.set _ZN9rocsparseL39csr2bsr_nnz_block_dim_equals_one_kernelILj256EiiEEvT1_21rocsparse_index_base_PKT0_S2_PS3_S6_.num_vgpr, 5
	.set _ZN9rocsparseL39csr2bsr_nnz_block_dim_equals_one_kernelILj256EiiEEvT1_21rocsparse_index_base_PKT0_S2_PS3_S6_.num_agpr, 0
	.set _ZN9rocsparseL39csr2bsr_nnz_block_dim_equals_one_kernelILj256EiiEEvT1_21rocsparse_index_base_PKT0_S2_PS3_S6_.numbered_sgpr, 10
	.set _ZN9rocsparseL39csr2bsr_nnz_block_dim_equals_one_kernelILj256EiiEEvT1_21rocsparse_index_base_PKT0_S2_PS3_S6_.num_named_barrier, 0
	.set _ZN9rocsparseL39csr2bsr_nnz_block_dim_equals_one_kernelILj256EiiEEvT1_21rocsparse_index_base_PKT0_S2_PS3_S6_.private_seg_size, 0
	.set _ZN9rocsparseL39csr2bsr_nnz_block_dim_equals_one_kernelILj256EiiEEvT1_21rocsparse_index_base_PKT0_S2_PS3_S6_.uses_vcc, 1
	.set _ZN9rocsparseL39csr2bsr_nnz_block_dim_equals_one_kernelILj256EiiEEvT1_21rocsparse_index_base_PKT0_S2_PS3_S6_.uses_flat_scratch, 0
	.set _ZN9rocsparseL39csr2bsr_nnz_block_dim_equals_one_kernelILj256EiiEEvT1_21rocsparse_index_base_PKT0_S2_PS3_S6_.has_dyn_sized_stack, 0
	.set _ZN9rocsparseL39csr2bsr_nnz_block_dim_equals_one_kernelILj256EiiEEvT1_21rocsparse_index_base_PKT0_S2_PS3_S6_.has_recursion, 0
	.set _ZN9rocsparseL39csr2bsr_nnz_block_dim_equals_one_kernelILj256EiiEEvT1_21rocsparse_index_base_PKT0_S2_PS3_S6_.has_indirect_call, 0
	.section	.AMDGPU.csdata,"",@progbits
; Kernel info:
; codeLenInByte = 240
; TotalNumSgprs: 12
; NumVgprs: 5
; ScratchSize: 0
; MemoryBound: 0
; FloatMode: 240
; IeeeMode: 1
; LDSByteSize: 0 bytes/workgroup (compile time only)
; SGPRBlocks: 0
; VGPRBlocks: 0
; NumSGPRsForWavesPerEU: 12
; NumVGPRsForWavesPerEU: 5
; Occupancy: 16
; WaveLimiterHint : 0
; COMPUTE_PGM_RSRC2:SCRATCH_EN: 0
; COMPUTE_PGM_RSRC2:USER_SGPR: 6
; COMPUTE_PGM_RSRC2:TRAP_HANDLER: 0
; COMPUTE_PGM_RSRC2:TGID_X_EN: 1
; COMPUTE_PGM_RSRC2:TGID_Y_EN: 0
; COMPUTE_PGM_RSRC2:TGID_Z_EN: 0
; COMPUTE_PGM_RSRC2:TIDIG_COMP_CNT: 0
	.section	.text._ZN9rocsparseL39csr2bsr_nnz_block_dim_equals_one_kernelILj256EiiEEvT1_21rocsparse_index_base_PKT0_S2_PS3_,"axG",@progbits,_ZN9rocsparseL39csr2bsr_nnz_block_dim_equals_one_kernelILj256EiiEEvT1_21rocsparse_index_base_PKT0_S2_PS3_,comdat
	.globl	_ZN9rocsparseL39csr2bsr_nnz_block_dim_equals_one_kernelILj256EiiEEvT1_21rocsparse_index_base_PKT0_S2_PS3_ ; -- Begin function _ZN9rocsparseL39csr2bsr_nnz_block_dim_equals_one_kernelILj256EiiEEvT1_21rocsparse_index_base_PKT0_S2_PS3_
	.p2align	8
	.type	_ZN9rocsparseL39csr2bsr_nnz_block_dim_equals_one_kernelILj256EiiEEvT1_21rocsparse_index_base_PKT0_S2_PS3_,@function
_ZN9rocsparseL39csr2bsr_nnz_block_dim_equals_one_kernelILj256EiiEEvT1_21rocsparse_index_base_PKT0_S2_PS3_: ; @_ZN9rocsparseL39csr2bsr_nnz_block_dim_equals_one_kernelILj256EiiEEvT1_21rocsparse_index_base_PKT0_S2_PS3_
; %bb.0:
	s_load_dwordx2 s[0:1], s[4:5], 0x0
	v_lshl_or_b32 v0, s6, 8, v0
	s_waitcnt lgkmcnt(0)
	v_cmp_ge_i32_e32 vcc_lo, s0, v0
	s_and_saveexec_b32 s0, vcc_lo
	s_cbranch_execz .LBB1_2
; %bb.1:
	s_clause 0x1
	s_load_dwordx2 s[2:3], s[4:5], 0x8
	s_load_dword s0, s[4:5], 0x10
	v_ashrrev_i32_e32 v1, 31, v0
	v_lshlrev_b64 v[0:1], 2, v[0:1]
	s_waitcnt lgkmcnt(0)
	v_add_co_u32 v2, vcc_lo, s2, v0
	v_add_co_ci_u32_e64 v3, null, s3, v1, vcc_lo
	s_load_dwordx2 s[2:3], s[4:5], 0x18
	s_sub_i32 s0, s0, s1
	global_load_dword v2, v[2:3], off
	s_waitcnt lgkmcnt(0)
	v_add_co_u32 v0, vcc_lo, s2, v0
	v_add_co_ci_u32_e64 v1, null, s3, v1, vcc_lo
	s_waitcnt vmcnt(0)
	v_add_nc_u32_e32 v2, s0, v2
	global_store_dword v[0:1], v2, off
.LBB1_2:
	s_endpgm
	.section	.rodata,"a",@progbits
	.p2align	6, 0x0
	.amdhsa_kernel _ZN9rocsparseL39csr2bsr_nnz_block_dim_equals_one_kernelILj256EiiEEvT1_21rocsparse_index_base_PKT0_S2_PS3_
		.amdhsa_group_segment_fixed_size 0
		.amdhsa_private_segment_fixed_size 0
		.amdhsa_kernarg_size 32
		.amdhsa_user_sgpr_count 6
		.amdhsa_user_sgpr_private_segment_buffer 1
		.amdhsa_user_sgpr_dispatch_ptr 0
		.amdhsa_user_sgpr_queue_ptr 0
		.amdhsa_user_sgpr_kernarg_segment_ptr 1
		.amdhsa_user_sgpr_dispatch_id 0
		.amdhsa_user_sgpr_flat_scratch_init 0
		.amdhsa_user_sgpr_private_segment_size 0
		.amdhsa_wavefront_size32 1
		.amdhsa_uses_dynamic_stack 0
		.amdhsa_system_sgpr_private_segment_wavefront_offset 0
		.amdhsa_system_sgpr_workgroup_id_x 1
		.amdhsa_system_sgpr_workgroup_id_y 0
		.amdhsa_system_sgpr_workgroup_id_z 0
		.amdhsa_system_sgpr_workgroup_info 0
		.amdhsa_system_vgpr_workitem_id 0
		.amdhsa_next_free_vgpr 4
		.amdhsa_next_free_sgpr 7
		.amdhsa_reserve_vcc 1
		.amdhsa_reserve_flat_scratch 0
		.amdhsa_float_round_mode_32 0
		.amdhsa_float_round_mode_16_64 0
		.amdhsa_float_denorm_mode_32 3
		.amdhsa_float_denorm_mode_16_64 3
		.amdhsa_dx10_clamp 1
		.amdhsa_ieee_mode 1
		.amdhsa_fp16_overflow 0
		.amdhsa_workgroup_processor_mode 1
		.amdhsa_memory_ordered 1
		.amdhsa_forward_progress 1
		.amdhsa_shared_vgpr_count 0
		.amdhsa_exception_fp_ieee_invalid_op 0
		.amdhsa_exception_fp_denorm_src 0
		.amdhsa_exception_fp_ieee_div_zero 0
		.amdhsa_exception_fp_ieee_overflow 0
		.amdhsa_exception_fp_ieee_underflow 0
		.amdhsa_exception_fp_ieee_inexact 0
		.amdhsa_exception_int_div_zero 0
	.end_amdhsa_kernel
	.section	.text._ZN9rocsparseL39csr2bsr_nnz_block_dim_equals_one_kernelILj256EiiEEvT1_21rocsparse_index_base_PKT0_S2_PS3_,"axG",@progbits,_ZN9rocsparseL39csr2bsr_nnz_block_dim_equals_one_kernelILj256EiiEEvT1_21rocsparse_index_base_PKT0_S2_PS3_,comdat
.Lfunc_end1:
	.size	_ZN9rocsparseL39csr2bsr_nnz_block_dim_equals_one_kernelILj256EiiEEvT1_21rocsparse_index_base_PKT0_S2_PS3_, .Lfunc_end1-_ZN9rocsparseL39csr2bsr_nnz_block_dim_equals_one_kernelILj256EiiEEvT1_21rocsparse_index_base_PKT0_S2_PS3_
                                        ; -- End function
	.set _ZN9rocsparseL39csr2bsr_nnz_block_dim_equals_one_kernelILj256EiiEEvT1_21rocsparse_index_base_PKT0_S2_PS3_.num_vgpr, 4
	.set _ZN9rocsparseL39csr2bsr_nnz_block_dim_equals_one_kernelILj256EiiEEvT1_21rocsparse_index_base_PKT0_S2_PS3_.num_agpr, 0
	.set _ZN9rocsparseL39csr2bsr_nnz_block_dim_equals_one_kernelILj256EiiEEvT1_21rocsparse_index_base_PKT0_S2_PS3_.numbered_sgpr, 7
	.set _ZN9rocsparseL39csr2bsr_nnz_block_dim_equals_one_kernelILj256EiiEEvT1_21rocsparse_index_base_PKT0_S2_PS3_.num_named_barrier, 0
	.set _ZN9rocsparseL39csr2bsr_nnz_block_dim_equals_one_kernelILj256EiiEEvT1_21rocsparse_index_base_PKT0_S2_PS3_.private_seg_size, 0
	.set _ZN9rocsparseL39csr2bsr_nnz_block_dim_equals_one_kernelILj256EiiEEvT1_21rocsparse_index_base_PKT0_S2_PS3_.uses_vcc, 1
	.set _ZN9rocsparseL39csr2bsr_nnz_block_dim_equals_one_kernelILj256EiiEEvT1_21rocsparse_index_base_PKT0_S2_PS3_.uses_flat_scratch, 0
	.set _ZN9rocsparseL39csr2bsr_nnz_block_dim_equals_one_kernelILj256EiiEEvT1_21rocsparse_index_base_PKT0_S2_PS3_.has_dyn_sized_stack, 0
	.set _ZN9rocsparseL39csr2bsr_nnz_block_dim_equals_one_kernelILj256EiiEEvT1_21rocsparse_index_base_PKT0_S2_PS3_.has_recursion, 0
	.set _ZN9rocsparseL39csr2bsr_nnz_block_dim_equals_one_kernelILj256EiiEEvT1_21rocsparse_index_base_PKT0_S2_PS3_.has_indirect_call, 0
	.section	.AMDGPU.csdata,"",@progbits
; Kernel info:
; codeLenInByte = 144
; TotalNumSgprs: 9
; NumVgprs: 4
; ScratchSize: 0
; MemoryBound: 0
; FloatMode: 240
; IeeeMode: 1
; LDSByteSize: 0 bytes/workgroup (compile time only)
; SGPRBlocks: 0
; VGPRBlocks: 0
; NumSGPRsForWavesPerEU: 9
; NumVGPRsForWavesPerEU: 4
; Occupancy: 16
; WaveLimiterHint : 0
; COMPUTE_PGM_RSRC2:SCRATCH_EN: 0
; COMPUTE_PGM_RSRC2:USER_SGPR: 6
; COMPUTE_PGM_RSRC2:TRAP_HANDLER: 0
; COMPUTE_PGM_RSRC2:TGID_X_EN: 1
; COMPUTE_PGM_RSRC2:TGID_Y_EN: 0
; COMPUTE_PGM_RSRC2:TGID_Z_EN: 0
; COMPUTE_PGM_RSRC2:TIDIG_COMP_CNT: 0
	.section	.text._ZN9rocsparseL46csr2bsr_nnz_wavefront_per_row_multipass_kernelILj256ELj16ELj4EiiEEvT3_S1_S1_S1_S1_21rocsparse_index_base_PKT2_PKS1_S2_PS3_,"axG",@progbits,_ZN9rocsparseL46csr2bsr_nnz_wavefront_per_row_multipass_kernelILj256ELj16ELj4EiiEEvT3_S1_S1_S1_S1_21rocsparse_index_base_PKT2_PKS1_S2_PS3_,comdat
	.globl	_ZN9rocsparseL46csr2bsr_nnz_wavefront_per_row_multipass_kernelILj256ELj16ELj4EiiEEvT3_S1_S1_S1_S1_21rocsparse_index_base_PKT2_PKS1_S2_PS3_ ; -- Begin function _ZN9rocsparseL46csr2bsr_nnz_wavefront_per_row_multipass_kernelILj256ELj16ELj4EiiEEvT3_S1_S1_S1_S1_21rocsparse_index_base_PKT2_PKS1_S2_PS3_
	.p2align	8
	.type	_ZN9rocsparseL46csr2bsr_nnz_wavefront_per_row_multipass_kernelILj256ELj16ELj4EiiEEvT3_S1_S1_S1_S1_21rocsparse_index_base_PKT2_PKS1_S2_PS3_,@function
_ZN9rocsparseL46csr2bsr_nnz_wavefront_per_row_multipass_kernelILj256ELj16ELj4EiiEEvT3_S1_S1_S1_S1_21rocsparse_index_base_PKT2_PKS1_S2_PS3_: ; @_ZN9rocsparseL46csr2bsr_nnz_wavefront_per_row_multipass_kernelILj256ELj16ELj4EiiEEvT3_S1_S1_S1_S1_21rocsparse_index_base_PKT2_PKS1_S2_PS3_
; %bb.0:
	s_clause 0x1
	s_load_dwordx4 s[8:11], s[4:5], 0x8
	s_load_dword s0, s[4:5], 0x0
	v_lshrrev_b32_e32 v5, 4, v0
	v_bfe_u32 v7, v0, 2, 2
	s_load_dwordx2 s[2:3], s[4:5], 0x18
	v_mov_b32_e32 v6, 0
	v_mov_b32_e32 v17, 0
	v_lshl_or_b32 v1, s6, 4, v5
	v_lshlrev_b32_e32 v4, 2, v5
	ds_write_b32 v4, v6
	s_waitcnt lgkmcnt(0)
	s_barrier
	buffer_gl0_inv
	v_mad_u64_u32 v[2:3], null, v1, s10, v[7:8]
	v_cmp_gt_i32_e32 vcc_lo, s0, v2
	v_cmp_gt_i32_e64 s0, s10, v7
	s_and_b32 s0, s0, vcc_lo
	s_and_saveexec_b32 s1, s0
	s_cbranch_execz .LBB2_2
; %bb.1:
	v_ashrrev_i32_e32 v3, 31, v2
	v_lshlrev_b64 v[7:8], 2, v[2:3]
	v_add_co_u32 v7, vcc_lo, s2, v7
	v_add_co_ci_u32_e64 v8, null, s3, v8, vcc_lo
	global_load_dword v3, v[7:8], off
	s_waitcnt vmcnt(0)
	v_subrev_nc_u32_e32 v17, s11, v3
.LBB2_2:
	s_or_b32 exec_lo, exec_lo, s1
	s_and_saveexec_b32 s1, s0
	s_cbranch_execz .LBB2_4
; %bb.3:
	v_ashrrev_i32_e32 v3, 31, v2
	v_lshlrev_b64 v[2:3], 2, v[2:3]
	v_add_co_u32 v2, vcc_lo, s2, v2
	v_add_co_ci_u32_e64 v3, null, s3, v3, vcc_lo
	global_load_dword v2, v[2:3], off offset:4
	s_waitcnt vmcnt(0)
	v_subrev_nc_u32_e32 v6, s11, v2
.LBB2_4:
	s_or_b32 exec_lo, exec_lo, s1
	v_and_b32_e32 v7, 15, v0
	s_cmp_lt_i32 s9, 1
	v_cmp_eq_u32_e32 vcc_lo, 0, v7
	s_cbranch_scc1 .LBB2_18
; %bb.5:
	s_abs_i32 s6, s10
	v_mbcnt_lo_u32_b32 v3, -1, 0
	v_cvt_f32_u32_e32 v2, s6
	s_sub_i32 s0, 0, s6
	s_load_dwordx2 s[2:3], s[4:5], 0x20
	v_and_b32_e32 v0, 3, v0
	v_xor_b32_e32 v10, 2, v3
	v_rcp_iflag_f32_e32 v2, v2
	v_xor_b32_e32 v11, 1, v3
	v_xor_b32_e32 v13, 8, v3
	;; [unrolled: 1-line block ×3, first 2 shown]
	v_lshlrev_b32_e32 v12, 2, v3
	v_mov_b32_e32 v8, 0
	v_mov_b32_e32 v9, 1
	s_mov_b32 s7, 0
	s_ashr_i32 s10, s10, 31
	v_mul_f32_e32 v2, 0x4f7ffffe, v2
	v_cvt_u32_f32_e32 v2, v2
	v_mul_lo_u32 v15, s0, v2
	v_cmp_gt_i32_e64 s0, 32, v10
	v_cndmask_b32_e64 v16, v3, v10, s0
	v_cmp_gt_i32_e64 s0, 32, v11
	v_mul_hi_u32 v20, v2, v15
	v_or_b32_e32 v10, 12, v12
	v_cndmask_b32_e64 v18, v3, v11, s0
	v_cmp_gt_i32_e64 s0, 32, v13
	v_or_b32_e32 v11, 60, v12
	v_lshlrev_b32_e32 v12, 2, v16
	v_add_nc_u32_e32 v16, v2, v20
	v_cndmask_b32_e64 v19, v3, v13, s0
	v_cmp_gt_i32_e64 s0, 32, v14
	v_lshlrev_b32_e32 v13, 2, v18
	v_cndmask_b32_e64 v3, v3, v14, s0
	v_lshlrev_b32_e32 v14, 2, v19
	v_mov_b32_e32 v19, 0
	v_lshlrev_b32_e32 v15, 2, v3
	s_branch .LBB2_7
.LBB2_6:                                ;   in Loop: Header=BB2_7 Depth=1
	s_or_b32 exec_lo, exec_lo, s0
	ds_bpermute_b32 v2, v14, v18
	s_waitcnt lgkmcnt(0)
	buffer_gl0_inv
	v_min_i32_e32 v2, v2, v18
	ds_bpermute_b32 v3, v15, v2
	s_waitcnt lgkmcnt(0)
	v_min_i32_e32 v2, v3, v2
	ds_bpermute_b32 v3, v12, v2
	s_waitcnt lgkmcnt(0)
	v_min_i32_e32 v2, v3, v2
	ds_bpermute_b32 v3, v13, v2
	s_waitcnt lgkmcnt(0)
	v_min_i32_e32 v2, v3, v2
	ds_bpermute_b32 v19, v11, v2
	s_waitcnt lgkmcnt(0)
	v_cmp_le_i32_e64 s0, s9, v19
	s_or_b32 s7, s0, s7
	s_andn2_b32 exec_lo, exec_lo, s7
	s_cbranch_execz .LBB2_17
.LBB2_7:                                ; =>This Loop Header: Depth=1
                                        ;     Child Loop BB2_10 Depth 2
	v_add_nc_u32_e32 v2, v17, v0
	v_mov_b32_e32 v18, s9
	v_mov_b32_e32 v17, v6
	s_mov_b32 s12, exec_lo
	ds_write_b8 v5, v8 offset:64
	s_waitcnt lgkmcnt(0)
	buffer_gl0_inv
	v_cmpx_lt_i32_e64 v2, v6
	s_cbranch_execz .LBB2_15
; %bb.8:                                ;   in Loop: Header=BB2_7 Depth=1
	v_mov_b32_e32 v18, s9
	v_mov_b32_e32 v17, v6
	s_mov_b32 s13, 0
	s_branch .LBB2_10
.LBB2_9:                                ;   in Loop: Header=BB2_10 Depth=2
	s_or_b32 exec_lo, exec_lo, s1
	v_add_nc_u32_e32 v2, 4, v2
	s_xor_b32 s0, s0, -1
	v_cmp_ge_i32_e64 s1, v2, v6
	s_or_b32 s0, s0, s1
	s_and_b32 s0, exec_lo, s0
	s_or_b32 s13, s0, s13
	s_andn2_b32 exec_lo, exec_lo, s13
	s_cbranch_execz .LBB2_14
.LBB2_10:                               ;   Parent Loop BB2_7 Depth=1
                                        ; =>  This Inner Loop Header: Depth=2
	v_ashrrev_i32_e32 v3, 31, v2
	v_lshlrev_b64 v[20:21], 2, v[2:3]
	v_add_co_u32 v20, s0, s2, v20
	v_add_co_ci_u32_e64 v21, null, s3, v21, s0
	global_load_dword v3, v[20:21], off
	s_waitcnt vmcnt(0)
	v_subrev_nc_u32_e32 v3, s11, v3
	v_sub_nc_u32_e32 v20, 0, v3
	v_max_i32_e32 v20, v3, v20
	v_ashrrev_i32_e32 v3, 31, v3
	v_mul_hi_u32 v21, v20, v16
	v_xor_b32_e32 v3, s10, v3
	v_mul_lo_u32 v22, v21, s6
	v_sub_nc_u32_e32 v20, v20, v22
	v_add_nc_u32_e32 v22, 1, v21
	v_subrev_nc_u32_e32 v23, s6, v20
	v_cmp_le_u32_e64 s0, s6, v20
	v_cndmask_b32_e64 v21, v21, v22, s0
	v_cndmask_b32_e64 v20, v20, v23, s0
	v_add_nc_u32_e32 v22, 1, v21
	v_cmp_le_u32_e64 s0, s6, v20
	v_cndmask_b32_e64 v20, v21, v22, s0
	v_xor_b32_e32 v20, v20, v3
	v_sub_nc_u32_e32 v20, v20, v3
	v_mov_b32_e32 v3, v17
	v_cmp_eq_u32_e64 s0, v20, v19
	v_cmp_ne_u32_e64 s1, v20, v19
	s_and_saveexec_b32 s14, s1
	s_xor_b32 s1, exec_lo, s14
; %bb.11:                               ;   in Loop: Header=BB2_10 Depth=2
	v_min_i32_e32 v18, v20, v18
                                        ; implicit-def: $vgpr3
; %bb.12:                               ;   in Loop: Header=BB2_10 Depth=2
	s_or_saveexec_b32 s1, s1
	v_mov_b32_e32 v17, v2
	s_xor_b32 exec_lo, exec_lo, s1
	s_cbranch_execz .LBB2_9
; %bb.13:                               ;   in Loop: Header=BB2_10 Depth=2
	v_mov_b32_e32 v17, v3
	ds_write_b8 v5, v9 offset:64
	s_branch .LBB2_9
.LBB2_14:                               ;   in Loop: Header=BB2_7 Depth=1
	s_or_b32 exec_lo, exec_lo, s13
.LBB2_15:                               ;   in Loop: Header=BB2_7 Depth=1
	s_or_b32 exec_lo, exec_lo, s12
	ds_bpermute_b32 v2, v12, v17
	s_waitcnt lgkmcnt(0)
	buffer_gl0_inv
	ds_read_u8 v19, v5 offset:64
	v_min_i32_e32 v2, v2, v17
	ds_bpermute_b32 v3, v13, v2
	s_waitcnt lgkmcnt(0)
	v_min_i32_e32 v2, v3, v2
	ds_bpermute_b32 v17, v10, v2
	v_and_b32_e32 v2, 1, v19
	v_cmp_eq_u32_e64 s0, 1, v2
	s_and_b32 s1, vcc_lo, s0
	s_and_saveexec_b32 s0, s1
	s_cbranch_execz .LBB2_6
; %bb.16:                               ;   in Loop: Header=BB2_7 Depth=1
	ds_read_b32 v2, v4
	s_waitcnt lgkmcnt(0)
	v_add_nc_u32_e32 v2, 1, v2
	ds_write_b32 v4, v2
	s_branch .LBB2_6
.LBB2_17:
	s_or_b32 exec_lo, exec_lo, s7
.LBB2_18:
	s_mov_b32 s0, exec_lo
	v_cmpx_eq_u32_e32 0, v7
	s_cbranch_execz .LBB2_21
; %bb.19:
	s_clause 0x1
	s_load_dword s2, s[4:5], 0x28
	s_load_dwordx2 s[0:1], s[4:5], 0x30
	v_mov_b32_e32 v2, 0
	v_cmp_gt_u32_e32 vcc_lo, s8, v1
	s_waitcnt lgkmcnt(0)
	v_mov_b32_e32 v0, s2
	global_store_dword v2, v0, s[0:1]
	s_and_b32 exec_lo, exec_lo, vcc_lo
	s_cbranch_execz .LBB2_21
; %bb.20:
	ds_read_b32 v3, v4
	v_lshlrev_b64 v[0:1], 2, v[1:2]
	v_add_co_u32 v0, vcc_lo, s0, v0
	v_add_co_ci_u32_e64 v1, null, s1, v1, vcc_lo
	s_waitcnt lgkmcnt(0)
	global_store_dword v[0:1], v3, off offset:4
.LBB2_21:
	s_endpgm
	.section	.rodata,"a",@progbits
	.p2align	6, 0x0
	.amdhsa_kernel _ZN9rocsparseL46csr2bsr_nnz_wavefront_per_row_multipass_kernelILj256ELj16ELj4EiiEEvT3_S1_S1_S1_S1_21rocsparse_index_base_PKT2_PKS1_S2_PS3_
		.amdhsa_group_segment_fixed_size 80
		.amdhsa_private_segment_fixed_size 0
		.amdhsa_kernarg_size 56
		.amdhsa_user_sgpr_count 6
		.amdhsa_user_sgpr_private_segment_buffer 1
		.amdhsa_user_sgpr_dispatch_ptr 0
		.amdhsa_user_sgpr_queue_ptr 0
		.amdhsa_user_sgpr_kernarg_segment_ptr 1
		.amdhsa_user_sgpr_dispatch_id 0
		.amdhsa_user_sgpr_flat_scratch_init 0
		.amdhsa_user_sgpr_private_segment_size 0
		.amdhsa_wavefront_size32 1
		.amdhsa_uses_dynamic_stack 0
		.amdhsa_system_sgpr_private_segment_wavefront_offset 0
		.amdhsa_system_sgpr_workgroup_id_x 1
		.amdhsa_system_sgpr_workgroup_id_y 0
		.amdhsa_system_sgpr_workgroup_id_z 0
		.amdhsa_system_sgpr_workgroup_info 0
		.amdhsa_system_vgpr_workitem_id 0
		.amdhsa_next_free_vgpr 24
		.amdhsa_next_free_sgpr 15
		.amdhsa_reserve_vcc 1
		.amdhsa_reserve_flat_scratch 0
		.amdhsa_float_round_mode_32 0
		.amdhsa_float_round_mode_16_64 0
		.amdhsa_float_denorm_mode_32 3
		.amdhsa_float_denorm_mode_16_64 3
		.amdhsa_dx10_clamp 1
		.amdhsa_ieee_mode 1
		.amdhsa_fp16_overflow 0
		.amdhsa_workgroup_processor_mode 1
		.amdhsa_memory_ordered 1
		.amdhsa_forward_progress 1
		.amdhsa_shared_vgpr_count 0
		.amdhsa_exception_fp_ieee_invalid_op 0
		.amdhsa_exception_fp_denorm_src 0
		.amdhsa_exception_fp_ieee_div_zero 0
		.amdhsa_exception_fp_ieee_overflow 0
		.amdhsa_exception_fp_ieee_underflow 0
		.amdhsa_exception_fp_ieee_inexact 0
		.amdhsa_exception_int_div_zero 0
	.end_amdhsa_kernel
	.section	.text._ZN9rocsparseL46csr2bsr_nnz_wavefront_per_row_multipass_kernelILj256ELj16ELj4EiiEEvT3_S1_S1_S1_S1_21rocsparse_index_base_PKT2_PKS1_S2_PS3_,"axG",@progbits,_ZN9rocsparseL46csr2bsr_nnz_wavefront_per_row_multipass_kernelILj256ELj16ELj4EiiEEvT3_S1_S1_S1_S1_21rocsparse_index_base_PKT2_PKS1_S2_PS3_,comdat
.Lfunc_end2:
	.size	_ZN9rocsparseL46csr2bsr_nnz_wavefront_per_row_multipass_kernelILj256ELj16ELj4EiiEEvT3_S1_S1_S1_S1_21rocsparse_index_base_PKT2_PKS1_S2_PS3_, .Lfunc_end2-_ZN9rocsparseL46csr2bsr_nnz_wavefront_per_row_multipass_kernelILj256ELj16ELj4EiiEEvT3_S1_S1_S1_S1_21rocsparse_index_base_PKT2_PKS1_S2_PS3_
                                        ; -- End function
	.set _ZN9rocsparseL46csr2bsr_nnz_wavefront_per_row_multipass_kernelILj256ELj16ELj4EiiEEvT3_S1_S1_S1_S1_21rocsparse_index_base_PKT2_PKS1_S2_PS3_.num_vgpr, 24
	.set _ZN9rocsparseL46csr2bsr_nnz_wavefront_per_row_multipass_kernelILj256ELj16ELj4EiiEEvT3_S1_S1_S1_S1_21rocsparse_index_base_PKT2_PKS1_S2_PS3_.num_agpr, 0
	.set _ZN9rocsparseL46csr2bsr_nnz_wavefront_per_row_multipass_kernelILj256ELj16ELj4EiiEEvT3_S1_S1_S1_S1_21rocsparse_index_base_PKT2_PKS1_S2_PS3_.numbered_sgpr, 15
	.set _ZN9rocsparseL46csr2bsr_nnz_wavefront_per_row_multipass_kernelILj256ELj16ELj4EiiEEvT3_S1_S1_S1_S1_21rocsparse_index_base_PKT2_PKS1_S2_PS3_.num_named_barrier, 0
	.set _ZN9rocsparseL46csr2bsr_nnz_wavefront_per_row_multipass_kernelILj256ELj16ELj4EiiEEvT3_S1_S1_S1_S1_21rocsparse_index_base_PKT2_PKS1_S2_PS3_.private_seg_size, 0
	.set _ZN9rocsparseL46csr2bsr_nnz_wavefront_per_row_multipass_kernelILj256ELj16ELj4EiiEEvT3_S1_S1_S1_S1_21rocsparse_index_base_PKT2_PKS1_S2_PS3_.uses_vcc, 1
	.set _ZN9rocsparseL46csr2bsr_nnz_wavefront_per_row_multipass_kernelILj256ELj16ELj4EiiEEvT3_S1_S1_S1_S1_21rocsparse_index_base_PKT2_PKS1_S2_PS3_.uses_flat_scratch, 0
	.set _ZN9rocsparseL46csr2bsr_nnz_wavefront_per_row_multipass_kernelILj256ELj16ELj4EiiEEvT3_S1_S1_S1_S1_21rocsparse_index_base_PKT2_PKS1_S2_PS3_.has_dyn_sized_stack, 0
	.set _ZN9rocsparseL46csr2bsr_nnz_wavefront_per_row_multipass_kernelILj256ELj16ELj4EiiEEvT3_S1_S1_S1_S1_21rocsparse_index_base_PKT2_PKS1_S2_PS3_.has_recursion, 0
	.set _ZN9rocsparseL46csr2bsr_nnz_wavefront_per_row_multipass_kernelILj256ELj16ELj4EiiEEvT3_S1_S1_S1_S1_21rocsparse_index_base_PKT2_PKS1_S2_PS3_.has_indirect_call, 0
	.section	.AMDGPU.csdata,"",@progbits
; Kernel info:
; codeLenInByte = 1084
; TotalNumSgprs: 17
; NumVgprs: 24
; ScratchSize: 0
; MemoryBound: 0
; FloatMode: 240
; IeeeMode: 1
; LDSByteSize: 80 bytes/workgroup (compile time only)
; SGPRBlocks: 0
; VGPRBlocks: 2
; NumSGPRsForWavesPerEU: 17
; NumVGPRsForWavesPerEU: 24
; Occupancy: 16
; WaveLimiterHint : 0
; COMPUTE_PGM_RSRC2:SCRATCH_EN: 0
; COMPUTE_PGM_RSRC2:USER_SGPR: 6
; COMPUTE_PGM_RSRC2:TRAP_HANDLER: 0
; COMPUTE_PGM_RSRC2:TGID_X_EN: 1
; COMPUTE_PGM_RSRC2:TGID_Y_EN: 0
; COMPUTE_PGM_RSRC2:TGID_Z_EN: 0
; COMPUTE_PGM_RSRC2:TIDIG_COMP_CNT: 0
	.section	.text._ZN9rocsparseL46csr2bsr_nnz_wavefront_per_row_multipass_kernelILj256ELj64ELj8EiiEEvT3_S1_S1_S1_S1_21rocsparse_index_base_PKT2_PKS1_S2_PS3_,"axG",@progbits,_ZN9rocsparseL46csr2bsr_nnz_wavefront_per_row_multipass_kernelILj256ELj64ELj8EiiEEvT3_S1_S1_S1_S1_21rocsparse_index_base_PKT2_PKS1_S2_PS3_,comdat
	.globl	_ZN9rocsparseL46csr2bsr_nnz_wavefront_per_row_multipass_kernelILj256ELj64ELj8EiiEEvT3_S1_S1_S1_S1_21rocsparse_index_base_PKT2_PKS1_S2_PS3_ ; -- Begin function _ZN9rocsparseL46csr2bsr_nnz_wavefront_per_row_multipass_kernelILj256ELj64ELj8EiiEEvT3_S1_S1_S1_S1_21rocsparse_index_base_PKT2_PKS1_S2_PS3_
	.p2align	8
	.type	_ZN9rocsparseL46csr2bsr_nnz_wavefront_per_row_multipass_kernelILj256ELj64ELj8EiiEEvT3_S1_S1_S1_S1_21rocsparse_index_base_PKT2_PKS1_S2_PS3_,@function
_ZN9rocsparseL46csr2bsr_nnz_wavefront_per_row_multipass_kernelILj256ELj64ELj8EiiEEvT3_S1_S1_S1_S1_21rocsparse_index_base_PKT2_PKS1_S2_PS3_: ; @_ZN9rocsparseL46csr2bsr_nnz_wavefront_per_row_multipass_kernelILj256ELj64ELj8EiiEEvT3_S1_S1_S1_S1_21rocsparse_index_base_PKT2_PKS1_S2_PS3_
; %bb.0:
	s_clause 0x1
	s_load_dwordx4 s[8:11], s[4:5], 0x8
	s_load_dword s0, s[4:5], 0x0
	v_lshrrev_b32_e32 v5, 6, v0
	v_bfe_u32 v7, v0, 3, 3
	s_load_dwordx2 s[2:3], s[4:5], 0x18
	v_mov_b32_e32 v6, 0
	v_mov_b32_e32 v19, 0
	v_lshl_or_b32 v1, s6, 2, v5
	v_lshlrev_b32_e32 v4, 2, v5
	ds_write_b32 v4, v6
	s_waitcnt lgkmcnt(0)
	s_barrier
	buffer_gl0_inv
	v_mad_u64_u32 v[2:3], null, v1, s10, v[7:8]
	v_cmp_gt_i32_e32 vcc_lo, s0, v2
	v_cmp_gt_i32_e64 s0, s10, v7
	s_and_b32 s0, s0, vcc_lo
	s_and_saveexec_b32 s1, s0
	s_cbranch_execz .LBB3_2
; %bb.1:
	v_ashrrev_i32_e32 v3, 31, v2
	v_lshlrev_b64 v[7:8], 2, v[2:3]
	v_add_co_u32 v7, vcc_lo, s2, v7
	v_add_co_ci_u32_e64 v8, null, s3, v8, vcc_lo
	global_load_dword v3, v[7:8], off
	s_waitcnt vmcnt(0)
	v_subrev_nc_u32_e32 v19, s11, v3
.LBB3_2:
	s_or_b32 exec_lo, exec_lo, s1
	s_and_saveexec_b32 s1, s0
	s_cbranch_execz .LBB3_4
; %bb.3:
	v_ashrrev_i32_e32 v3, 31, v2
	v_lshlrev_b64 v[2:3], 2, v[2:3]
	v_add_co_u32 v2, vcc_lo, s2, v2
	v_add_co_ci_u32_e64 v3, null, s3, v3, vcc_lo
	global_load_dword v2, v[2:3], off offset:4
	s_waitcnt vmcnt(0)
	v_subrev_nc_u32_e32 v6, s11, v2
.LBB3_4:
	s_or_b32 exec_lo, exec_lo, s1
	v_and_b32_e32 v7, 63, v0
	s_cmp_lt_i32 s9, 1
	v_cmp_eq_u32_e32 vcc_lo, 0, v7
	s_cbranch_scc1 .LBB3_18
; %bb.5:
	v_mbcnt_lo_u32_b32 v3, -1, 0
	s_abs_i32 s6, s10
	s_load_dwordx2 s[2:3], s[4:5], 0x20
	v_cvt_f32_u32_e32 v2, s6
	s_sub_i32 s1, 0, s6
	v_xor_b32_e32 v12, 4, v3
	v_xor_b32_e32 v13, 2, v3
	;; [unrolled: 1-line block ×3, first 2 shown]
	v_rcp_iflag_f32_e32 v2, v2
	v_or_b32_e32 v15, 32, v3
	v_cmp_gt_i32_e64 s0, 32, v12
	v_xor_b32_e32 v16, 16, v3
	v_xor_b32_e32 v17, 8, v3
	v_lshl_or_b32 v11, v3, 2, 28
	v_and_b32_e32 v0, 7, v0
	v_cndmask_b32_e64 v12, v3, v12, s0
	v_cmp_gt_i32_e64 s0, 32, v13
	v_bfrev_b32_e32 v8, 0.5
	v_mul_f32_e32 v2, 0x4f7ffffe, v2
	v_mov_b32_e32 v9, 0
	v_mov_b32_e32 v10, 1
	v_cndmask_b32_e64 v13, v3, v13, s0
	v_cmp_gt_i32_e64 s0, 32, v14
	v_cvt_u32_f32_e32 v2, v2
	v_lshlrev_b32_e32 v12, 2, v12
	v_mov_b32_e32 v21, 0
	v_lshlrev_b32_e32 v13, 2, v13
	v_cndmask_b32_e64 v14, v3, v14, s0
	v_cmp_gt_i32_e64 s0, 32, v15
	v_mul_lo_u32 v18, s1, v2
	s_mov_b32 s7, 0
	s_ashr_i32 s10, s10, 31
	v_lshlrev_b32_e32 v14, 2, v14
	v_cndmask_b32_e64 v15, v3, v15, s0
	v_cmp_gt_i32_e64 s0, 32, v16
	v_mul_hi_u32 v18, v2, v18
	v_lshlrev_b32_e32 v15, 2, v15
	v_cndmask_b32_e64 v16, v3, v16, s0
	v_cmp_gt_i32_e64 s0, 32, v17
	v_lshlrev_b32_e32 v16, 2, v16
	v_cndmask_b32_e64 v3, v3, v17, s0
	v_add_nc_u32_e32 v18, v2, v18
	v_lshlrev_b32_e32 v17, 2, v3
	s_branch .LBB3_7
.LBB3_6:                                ;   in Loop: Header=BB3_7 Depth=1
	s_or_b32 exec_lo, exec_lo, s0
	ds_bpermute_b32 v2, v15, v20
	s_waitcnt lgkmcnt(0)
	buffer_gl0_inv
	v_min_i32_e32 v2, v2, v20
	ds_bpermute_b32 v3, v16, v2
	s_waitcnt lgkmcnt(0)
	v_min_i32_e32 v2, v3, v2
	ds_bpermute_b32 v3, v17, v2
	s_waitcnt lgkmcnt(0)
	;; [unrolled: 3-line block ×6, first 2 shown]
	v_cmp_le_i32_e64 s0, s9, v21
	s_or_b32 s7, s0, s7
	s_andn2_b32 exec_lo, exec_lo, s7
	s_cbranch_execz .LBB3_17
.LBB3_7:                                ; =>This Loop Header: Depth=1
                                        ;     Child Loop BB3_10 Depth 2
	v_add_nc_u32_e32 v2, v19, v0
	v_mov_b32_e32 v20, s9
	v_mov_b32_e32 v19, v6
	s_mov_b32 s12, exec_lo
	ds_write_b8 v5, v9 offset:16
	s_waitcnt lgkmcnt(0)
	buffer_gl0_inv
	v_cmpx_lt_i32_e64 v2, v6
	s_cbranch_execz .LBB3_15
; %bb.8:                                ;   in Loop: Header=BB3_7 Depth=1
	v_mov_b32_e32 v20, s9
	v_mov_b32_e32 v19, v6
	s_mov_b32 s13, 0
	s_branch .LBB3_10
.LBB3_9:                                ;   in Loop: Header=BB3_10 Depth=2
	s_or_b32 exec_lo, exec_lo, s1
	v_add_nc_u32_e32 v2, 8, v2
	s_xor_b32 s0, s0, -1
	v_cmp_ge_i32_e64 s1, v2, v6
	s_or_b32 s0, s0, s1
	s_and_b32 s0, exec_lo, s0
	s_or_b32 s13, s0, s13
	s_andn2_b32 exec_lo, exec_lo, s13
	s_cbranch_execz .LBB3_14
.LBB3_10:                               ;   Parent Loop BB3_7 Depth=1
                                        ; =>  This Inner Loop Header: Depth=2
	v_ashrrev_i32_e32 v3, 31, v2
	v_lshlrev_b64 v[22:23], 2, v[2:3]
	v_add_co_u32 v22, s0, s2, v22
	v_add_co_ci_u32_e64 v23, null, s3, v23, s0
	global_load_dword v3, v[22:23], off
	s_waitcnt vmcnt(0)
	v_subrev_nc_u32_e32 v3, s11, v3
	v_sub_nc_u32_e32 v22, 0, v3
	v_max_i32_e32 v22, v3, v22
	v_ashrrev_i32_e32 v3, 31, v3
	v_mul_hi_u32 v23, v22, v18
	v_xor_b32_e32 v3, s10, v3
	v_mul_lo_u32 v24, v23, s6
	v_sub_nc_u32_e32 v22, v22, v24
	v_add_nc_u32_e32 v24, 1, v23
	v_subrev_nc_u32_e32 v25, s6, v22
	v_cmp_le_u32_e64 s0, s6, v22
	v_cndmask_b32_e64 v23, v23, v24, s0
	v_cndmask_b32_e64 v22, v22, v25, s0
	v_add_nc_u32_e32 v24, 1, v23
	v_cmp_le_u32_e64 s0, s6, v22
	v_cndmask_b32_e64 v22, v23, v24, s0
	v_xor_b32_e32 v22, v22, v3
	v_sub_nc_u32_e32 v22, v22, v3
	v_mov_b32_e32 v3, v19
	v_cmp_eq_u32_e64 s0, v22, v21
	v_cmp_ne_u32_e64 s1, v22, v21
	s_and_saveexec_b32 s14, s1
	s_xor_b32 s1, exec_lo, s14
; %bb.11:                               ;   in Loop: Header=BB3_10 Depth=2
	v_min_i32_e32 v20, v22, v20
                                        ; implicit-def: $vgpr3
; %bb.12:                               ;   in Loop: Header=BB3_10 Depth=2
	s_or_saveexec_b32 s1, s1
	v_mov_b32_e32 v19, v2
	s_xor_b32 exec_lo, exec_lo, s1
	s_cbranch_execz .LBB3_9
; %bb.13:                               ;   in Loop: Header=BB3_10 Depth=2
	v_mov_b32_e32 v19, v3
	ds_write_b8 v5, v10 offset:16
	s_branch .LBB3_9
.LBB3_14:                               ;   in Loop: Header=BB3_7 Depth=1
	s_or_b32 exec_lo, exec_lo, s13
.LBB3_15:                               ;   in Loop: Header=BB3_7 Depth=1
	s_or_b32 exec_lo, exec_lo, s12
	ds_bpermute_b32 v2, v12, v19
	s_waitcnt lgkmcnt(0)
	buffer_gl0_inv
	ds_read_u8 v21, v5 offset:16
	v_min_i32_e32 v2, v2, v19
	ds_bpermute_b32 v3, v13, v2
	s_waitcnt lgkmcnt(0)
	v_min_i32_e32 v2, v3, v2
	ds_bpermute_b32 v3, v14, v2
	s_waitcnt lgkmcnt(0)
	v_min_i32_e32 v2, v3, v2
	ds_bpermute_b32 v19, v11, v2
	v_and_b32_e32 v2, 1, v21
	v_cmp_eq_u32_e64 s0, 1, v2
	s_and_b32 s1, vcc_lo, s0
	s_and_saveexec_b32 s0, s1
	s_cbranch_execz .LBB3_6
; %bb.16:                               ;   in Loop: Header=BB3_7 Depth=1
	ds_read_b32 v2, v4
	s_waitcnt lgkmcnt(0)
	v_add_nc_u32_e32 v2, 1, v2
	ds_write_b32 v4, v2
	s_branch .LBB3_6
.LBB3_17:
	s_or_b32 exec_lo, exec_lo, s7
.LBB3_18:
	s_mov_b32 s0, exec_lo
	v_cmpx_eq_u32_e32 0, v7
	s_cbranch_execz .LBB3_21
; %bb.19:
	s_clause 0x1
	s_load_dword s2, s[4:5], 0x28
	s_load_dwordx2 s[0:1], s[4:5], 0x30
	v_mov_b32_e32 v2, 0
	v_cmp_gt_u32_e32 vcc_lo, s8, v1
	s_waitcnt lgkmcnt(0)
	v_mov_b32_e32 v0, s2
	global_store_dword v2, v0, s[0:1]
	s_and_b32 exec_lo, exec_lo, vcc_lo
	s_cbranch_execz .LBB3_21
; %bb.20:
	ds_read_b32 v3, v4
	v_lshlrev_b64 v[0:1], 2, v[1:2]
	v_add_co_u32 v0, vcc_lo, s0, v0
	v_add_co_ci_u32_e64 v1, null, s1, v1, vcc_lo
	s_waitcnt lgkmcnt(0)
	global_store_dword v[0:1], v3, off offset:4
.LBB3_21:
	s_endpgm
	.section	.rodata,"a",@progbits
	.p2align	6, 0x0
	.amdhsa_kernel _ZN9rocsparseL46csr2bsr_nnz_wavefront_per_row_multipass_kernelILj256ELj64ELj8EiiEEvT3_S1_S1_S1_S1_21rocsparse_index_base_PKT2_PKS1_S2_PS3_
		.amdhsa_group_segment_fixed_size 20
		.amdhsa_private_segment_fixed_size 0
		.amdhsa_kernarg_size 56
		.amdhsa_user_sgpr_count 6
		.amdhsa_user_sgpr_private_segment_buffer 1
		.amdhsa_user_sgpr_dispatch_ptr 0
		.amdhsa_user_sgpr_queue_ptr 0
		.amdhsa_user_sgpr_kernarg_segment_ptr 1
		.amdhsa_user_sgpr_dispatch_id 0
		.amdhsa_user_sgpr_flat_scratch_init 0
		.amdhsa_user_sgpr_private_segment_size 0
		.amdhsa_wavefront_size32 1
		.amdhsa_uses_dynamic_stack 0
		.amdhsa_system_sgpr_private_segment_wavefront_offset 0
		.amdhsa_system_sgpr_workgroup_id_x 1
		.amdhsa_system_sgpr_workgroup_id_y 0
		.amdhsa_system_sgpr_workgroup_id_z 0
		.amdhsa_system_sgpr_workgroup_info 0
		.amdhsa_system_vgpr_workitem_id 0
		.amdhsa_next_free_vgpr 26
		.amdhsa_next_free_sgpr 15
		.amdhsa_reserve_vcc 1
		.amdhsa_reserve_flat_scratch 0
		.amdhsa_float_round_mode_32 0
		.amdhsa_float_round_mode_16_64 0
		.amdhsa_float_denorm_mode_32 3
		.amdhsa_float_denorm_mode_16_64 3
		.amdhsa_dx10_clamp 1
		.amdhsa_ieee_mode 1
		.amdhsa_fp16_overflow 0
		.amdhsa_workgroup_processor_mode 1
		.amdhsa_memory_ordered 1
		.amdhsa_forward_progress 1
		.amdhsa_shared_vgpr_count 0
		.amdhsa_exception_fp_ieee_invalid_op 0
		.amdhsa_exception_fp_denorm_src 0
		.amdhsa_exception_fp_ieee_div_zero 0
		.amdhsa_exception_fp_ieee_overflow 0
		.amdhsa_exception_fp_ieee_underflow 0
		.amdhsa_exception_fp_ieee_inexact 0
		.amdhsa_exception_int_div_zero 0
	.end_amdhsa_kernel
	.section	.text._ZN9rocsparseL46csr2bsr_nnz_wavefront_per_row_multipass_kernelILj256ELj64ELj8EiiEEvT3_S1_S1_S1_S1_21rocsparse_index_base_PKT2_PKS1_S2_PS3_,"axG",@progbits,_ZN9rocsparseL46csr2bsr_nnz_wavefront_per_row_multipass_kernelILj256ELj64ELj8EiiEEvT3_S1_S1_S1_S1_21rocsparse_index_base_PKT2_PKS1_S2_PS3_,comdat
.Lfunc_end3:
	.size	_ZN9rocsparseL46csr2bsr_nnz_wavefront_per_row_multipass_kernelILj256ELj64ELj8EiiEEvT3_S1_S1_S1_S1_21rocsparse_index_base_PKT2_PKS1_S2_PS3_, .Lfunc_end3-_ZN9rocsparseL46csr2bsr_nnz_wavefront_per_row_multipass_kernelILj256ELj64ELj8EiiEEvT3_S1_S1_S1_S1_21rocsparse_index_base_PKT2_PKS1_S2_PS3_
                                        ; -- End function
	.set _ZN9rocsparseL46csr2bsr_nnz_wavefront_per_row_multipass_kernelILj256ELj64ELj8EiiEEvT3_S1_S1_S1_S1_21rocsparse_index_base_PKT2_PKS1_S2_PS3_.num_vgpr, 26
	.set _ZN9rocsparseL46csr2bsr_nnz_wavefront_per_row_multipass_kernelILj256ELj64ELj8EiiEEvT3_S1_S1_S1_S1_21rocsparse_index_base_PKT2_PKS1_S2_PS3_.num_agpr, 0
	.set _ZN9rocsparseL46csr2bsr_nnz_wavefront_per_row_multipass_kernelILj256ELj64ELj8EiiEEvT3_S1_S1_S1_S1_21rocsparse_index_base_PKT2_PKS1_S2_PS3_.numbered_sgpr, 15
	.set _ZN9rocsparseL46csr2bsr_nnz_wavefront_per_row_multipass_kernelILj256ELj64ELj8EiiEEvT3_S1_S1_S1_S1_21rocsparse_index_base_PKT2_PKS1_S2_PS3_.num_named_barrier, 0
	.set _ZN9rocsparseL46csr2bsr_nnz_wavefront_per_row_multipass_kernelILj256ELj64ELj8EiiEEvT3_S1_S1_S1_S1_21rocsparse_index_base_PKT2_PKS1_S2_PS3_.private_seg_size, 0
	.set _ZN9rocsparseL46csr2bsr_nnz_wavefront_per_row_multipass_kernelILj256ELj64ELj8EiiEEvT3_S1_S1_S1_S1_21rocsparse_index_base_PKT2_PKS1_S2_PS3_.uses_vcc, 1
	.set _ZN9rocsparseL46csr2bsr_nnz_wavefront_per_row_multipass_kernelILj256ELj64ELj8EiiEEvT3_S1_S1_S1_S1_21rocsparse_index_base_PKT2_PKS1_S2_PS3_.uses_flat_scratch, 0
	.set _ZN9rocsparseL46csr2bsr_nnz_wavefront_per_row_multipass_kernelILj256ELj64ELj8EiiEEvT3_S1_S1_S1_S1_21rocsparse_index_base_PKT2_PKS1_S2_PS3_.has_dyn_sized_stack, 0
	.set _ZN9rocsparseL46csr2bsr_nnz_wavefront_per_row_multipass_kernelILj256ELj64ELj8EiiEEvT3_S1_S1_S1_S1_21rocsparse_index_base_PKT2_PKS1_S2_PS3_.has_recursion, 0
	.set _ZN9rocsparseL46csr2bsr_nnz_wavefront_per_row_multipass_kernelILj256ELj64ELj8EiiEEvT3_S1_S1_S1_S1_21rocsparse_index_base_PKT2_PKS1_S2_PS3_.has_indirect_call, 0
	.section	.AMDGPU.csdata,"",@progbits
; Kernel info:
; codeLenInByte = 1180
; TotalNumSgprs: 17
; NumVgprs: 26
; ScratchSize: 0
; MemoryBound: 0
; FloatMode: 240
; IeeeMode: 1
; LDSByteSize: 20 bytes/workgroup (compile time only)
; SGPRBlocks: 0
; VGPRBlocks: 3
; NumSGPRsForWavesPerEU: 17
; NumVGPRsForWavesPerEU: 26
; Occupancy: 16
; WaveLimiterHint : 0
; COMPUTE_PGM_RSRC2:SCRATCH_EN: 0
; COMPUTE_PGM_RSRC2:USER_SGPR: 6
; COMPUTE_PGM_RSRC2:TRAP_HANDLER: 0
; COMPUTE_PGM_RSRC2:TGID_X_EN: 1
; COMPUTE_PGM_RSRC2:TGID_Y_EN: 0
; COMPUTE_PGM_RSRC2:TGID_Z_EN: 0
; COMPUTE_PGM_RSRC2:TIDIG_COMP_CNT: 0
	.section	.text._ZN9rocsparseL46csr2bsr_nnz_wavefront_per_row_multipass_kernelILj256ELj32ELj8EiiEEvT3_S1_S1_S1_S1_21rocsparse_index_base_PKT2_PKS1_S2_PS3_,"axG",@progbits,_ZN9rocsparseL46csr2bsr_nnz_wavefront_per_row_multipass_kernelILj256ELj32ELj8EiiEEvT3_S1_S1_S1_S1_21rocsparse_index_base_PKT2_PKS1_S2_PS3_,comdat
	.globl	_ZN9rocsparseL46csr2bsr_nnz_wavefront_per_row_multipass_kernelILj256ELj32ELj8EiiEEvT3_S1_S1_S1_S1_21rocsparse_index_base_PKT2_PKS1_S2_PS3_ ; -- Begin function _ZN9rocsparseL46csr2bsr_nnz_wavefront_per_row_multipass_kernelILj256ELj32ELj8EiiEEvT3_S1_S1_S1_S1_21rocsparse_index_base_PKT2_PKS1_S2_PS3_
	.p2align	8
	.type	_ZN9rocsparseL46csr2bsr_nnz_wavefront_per_row_multipass_kernelILj256ELj32ELj8EiiEEvT3_S1_S1_S1_S1_21rocsparse_index_base_PKT2_PKS1_S2_PS3_,@function
_ZN9rocsparseL46csr2bsr_nnz_wavefront_per_row_multipass_kernelILj256ELj32ELj8EiiEEvT3_S1_S1_S1_S1_21rocsparse_index_base_PKT2_PKS1_S2_PS3_: ; @_ZN9rocsparseL46csr2bsr_nnz_wavefront_per_row_multipass_kernelILj256ELj32ELj8EiiEEvT3_S1_S1_S1_S1_21rocsparse_index_base_PKT2_PKS1_S2_PS3_
; %bb.0:
	s_clause 0x1
	s_load_dwordx4 s[8:11], s[4:5], 0x8
	s_load_dword s0, s[4:5], 0x0
	v_lshrrev_b32_e32 v5, 5, v0
	v_bfe_u32 v7, v0, 2, 3
	s_load_dwordx2 s[2:3], s[4:5], 0x18
	v_mov_b32_e32 v6, 0
	v_mov_b32_e32 v18, 0
	v_lshl_or_b32 v1, s6, 3, v5
	v_lshlrev_b32_e32 v4, 2, v5
	ds_write_b32 v4, v6
	s_waitcnt lgkmcnt(0)
	s_barrier
	buffer_gl0_inv
	v_mad_u64_u32 v[2:3], null, v1, s10, v[7:8]
	v_cmp_gt_i32_e32 vcc_lo, s0, v2
	v_cmp_gt_i32_e64 s0, s10, v7
	s_and_b32 s0, s0, vcc_lo
	s_and_saveexec_b32 s1, s0
	s_cbranch_execz .LBB4_2
; %bb.1:
	v_ashrrev_i32_e32 v3, 31, v2
	v_lshlrev_b64 v[7:8], 2, v[2:3]
	v_add_co_u32 v7, vcc_lo, s2, v7
	v_add_co_ci_u32_e64 v8, null, s3, v8, vcc_lo
	global_load_dword v3, v[7:8], off
	s_waitcnt vmcnt(0)
	v_subrev_nc_u32_e32 v18, s11, v3
.LBB4_2:
	s_or_b32 exec_lo, exec_lo, s1
	s_and_saveexec_b32 s1, s0
	s_cbranch_execz .LBB4_4
; %bb.3:
	v_ashrrev_i32_e32 v3, 31, v2
	v_lshlrev_b64 v[2:3], 2, v[2:3]
	v_add_co_u32 v2, vcc_lo, s2, v2
	v_add_co_ci_u32_e64 v3, null, s3, v3, vcc_lo
	global_load_dword v2, v[2:3], off offset:4
	s_waitcnt vmcnt(0)
	v_subrev_nc_u32_e32 v6, s11, v2
.LBB4_4:
	s_or_b32 exec_lo, exec_lo, s1
	v_and_b32_e32 v7, 31, v0
	s_cmp_lt_i32 s9, 1
	v_cmp_eq_u32_e32 vcc_lo, 0, v7
	s_cbranch_scc1 .LBB4_18
; %bb.5:
	s_abs_i32 s6, s10
	v_mbcnt_lo_u32_b32 v3, -1, 0
	v_cvt_f32_u32_e32 v2, s6
	s_sub_i32 s0, 0, s6
	s_load_dwordx2 s[2:3], s[4:5], 0x20
	v_and_b32_e32 v0, 3, v0
	v_xor_b32_e32 v12, 2, v3
	v_rcp_iflag_f32_e32 v2, v2
	v_xor_b32_e32 v13, 1, v3
	v_xor_b32_e32 v14, 16, v3
	v_xor_b32_e32 v15, 8, v3
	v_xor_b32_e32 v16, 4, v3
	v_lshl_or_b32 v11, v3, 2, 12
	v_mov_b32_e32 v8, 0x7c
	v_mov_b32_e32 v9, 0
	;; [unrolled: 1-line block ×4, first 2 shown]
	v_mul_f32_e32 v2, 0x4f7ffffe, v2
	s_mov_b32 s7, 0
	s_ashr_i32 s10, s10, 31
	v_cvt_u32_f32_e32 v2, v2
	v_mul_lo_u32 v17, s0, v2
	v_cmp_gt_i32_e64 s0, 32, v12
	v_cndmask_b32_e64 v12, v3, v12, s0
	v_cmp_gt_i32_e64 s0, 32, v13
	v_mul_hi_u32 v17, v2, v17
	v_lshlrev_b32_e32 v12, 2, v12
	v_cndmask_b32_e64 v13, v3, v13, s0
	v_cmp_gt_i32_e64 s0, 32, v14
	v_add_nc_u32_e32 v17, v2, v17
	v_lshlrev_b32_e32 v13, 2, v13
	v_cndmask_b32_e64 v14, v3, v14, s0
	v_cmp_gt_i32_e64 s0, 32, v15
	v_lshlrev_b32_e32 v14, 2, v14
	v_cndmask_b32_e64 v15, v3, v15, s0
	v_cmp_gt_i32_e64 s0, 32, v16
	v_lshlrev_b32_e32 v15, 2, v15
	v_cndmask_b32_e64 v3, v3, v16, s0
	v_lshlrev_b32_e32 v16, 2, v3
	s_branch .LBB4_7
.LBB4_6:                                ;   in Loop: Header=BB4_7 Depth=1
	s_or_b32 exec_lo, exec_lo, s0
	ds_bpermute_b32 v2, v14, v19
	s_waitcnt lgkmcnt(0)
	buffer_gl0_inv
	v_min_i32_e32 v2, v2, v19
	ds_bpermute_b32 v3, v15, v2
	s_waitcnt lgkmcnt(0)
	v_min_i32_e32 v2, v3, v2
	ds_bpermute_b32 v3, v16, v2
	s_waitcnt lgkmcnt(0)
	v_min_i32_e32 v2, v3, v2
	ds_bpermute_b32 v3, v12, v2
	s_waitcnt lgkmcnt(0)
	v_min_i32_e32 v2, v3, v2
	ds_bpermute_b32 v3, v13, v2
	s_waitcnt lgkmcnt(0)
	v_min_i32_e32 v2, v3, v2
	ds_bpermute_b32 v20, v8, v2
	s_waitcnt lgkmcnt(0)
	v_cmp_le_i32_e64 s0, s9, v20
	s_or_b32 s7, s0, s7
	s_andn2_b32 exec_lo, exec_lo, s7
	s_cbranch_execz .LBB4_17
.LBB4_7:                                ; =>This Loop Header: Depth=1
                                        ;     Child Loop BB4_10 Depth 2
	v_add_nc_u32_e32 v2, v18, v0
	v_mov_b32_e32 v19, s9
	v_mov_b32_e32 v18, v6
	s_mov_b32 s12, exec_lo
	ds_write_b8 v5, v9 offset:32
	s_waitcnt lgkmcnt(0)
	buffer_gl0_inv
	v_cmpx_lt_i32_e64 v2, v6
	s_cbranch_execz .LBB4_15
; %bb.8:                                ;   in Loop: Header=BB4_7 Depth=1
	v_mov_b32_e32 v19, s9
	v_mov_b32_e32 v18, v6
	s_mov_b32 s13, 0
	s_branch .LBB4_10
.LBB4_9:                                ;   in Loop: Header=BB4_10 Depth=2
	s_or_b32 exec_lo, exec_lo, s1
	v_add_nc_u32_e32 v2, 4, v2
	s_xor_b32 s0, s0, -1
	v_cmp_ge_i32_e64 s1, v2, v6
	s_or_b32 s0, s0, s1
	s_and_b32 s0, exec_lo, s0
	s_or_b32 s13, s0, s13
	s_andn2_b32 exec_lo, exec_lo, s13
	s_cbranch_execz .LBB4_14
.LBB4_10:                               ;   Parent Loop BB4_7 Depth=1
                                        ; =>  This Inner Loop Header: Depth=2
	v_ashrrev_i32_e32 v3, 31, v2
	v_lshlrev_b64 v[21:22], 2, v[2:3]
	v_add_co_u32 v21, s0, s2, v21
	v_add_co_ci_u32_e64 v22, null, s3, v22, s0
	global_load_dword v3, v[21:22], off
	s_waitcnt vmcnt(0)
	v_subrev_nc_u32_e32 v3, s11, v3
	v_sub_nc_u32_e32 v21, 0, v3
	v_max_i32_e32 v21, v3, v21
	v_ashrrev_i32_e32 v3, 31, v3
	v_mul_hi_u32 v22, v21, v17
	v_xor_b32_e32 v3, s10, v3
	v_mul_lo_u32 v23, v22, s6
	v_sub_nc_u32_e32 v21, v21, v23
	v_add_nc_u32_e32 v23, 1, v22
	v_subrev_nc_u32_e32 v24, s6, v21
	v_cmp_le_u32_e64 s0, s6, v21
	v_cndmask_b32_e64 v22, v22, v23, s0
	v_cndmask_b32_e64 v21, v21, v24, s0
	v_add_nc_u32_e32 v23, 1, v22
	v_cmp_le_u32_e64 s0, s6, v21
	v_cndmask_b32_e64 v21, v22, v23, s0
	v_xor_b32_e32 v21, v21, v3
	v_sub_nc_u32_e32 v21, v21, v3
	v_mov_b32_e32 v3, v18
	v_cmp_eq_u32_e64 s0, v21, v20
	v_cmp_ne_u32_e64 s1, v21, v20
	s_and_saveexec_b32 s14, s1
	s_xor_b32 s1, exec_lo, s14
; %bb.11:                               ;   in Loop: Header=BB4_10 Depth=2
	v_min_i32_e32 v19, v21, v19
                                        ; implicit-def: $vgpr3
; %bb.12:                               ;   in Loop: Header=BB4_10 Depth=2
	s_or_saveexec_b32 s1, s1
	v_mov_b32_e32 v18, v2
	s_xor_b32 exec_lo, exec_lo, s1
	s_cbranch_execz .LBB4_9
; %bb.13:                               ;   in Loop: Header=BB4_10 Depth=2
	v_mov_b32_e32 v18, v3
	ds_write_b8 v5, v10 offset:32
	s_branch .LBB4_9
.LBB4_14:                               ;   in Loop: Header=BB4_7 Depth=1
	s_or_b32 exec_lo, exec_lo, s13
.LBB4_15:                               ;   in Loop: Header=BB4_7 Depth=1
	s_or_b32 exec_lo, exec_lo, s12
	ds_bpermute_b32 v2, v12, v18
	s_waitcnt lgkmcnt(0)
	buffer_gl0_inv
	ds_read_u8 v20, v5 offset:32
	v_min_i32_e32 v2, v2, v18
	ds_bpermute_b32 v3, v13, v2
	s_waitcnt lgkmcnt(0)
	v_min_i32_e32 v2, v3, v2
	ds_bpermute_b32 v18, v11, v2
	v_and_b32_e32 v2, 1, v20
	v_cmp_eq_u32_e64 s0, 1, v2
	s_and_b32 s1, vcc_lo, s0
	s_and_saveexec_b32 s0, s1
	s_cbranch_execz .LBB4_6
; %bb.16:                               ;   in Loop: Header=BB4_7 Depth=1
	ds_read_b32 v2, v4
	s_waitcnt lgkmcnt(0)
	v_add_nc_u32_e32 v2, 1, v2
	ds_write_b32 v4, v2
	s_branch .LBB4_6
.LBB4_17:
	s_or_b32 exec_lo, exec_lo, s7
.LBB4_18:
	s_mov_b32 s0, exec_lo
	v_cmpx_eq_u32_e32 0, v7
	s_cbranch_execz .LBB4_21
; %bb.19:
	s_clause 0x1
	s_load_dword s2, s[4:5], 0x28
	s_load_dwordx2 s[0:1], s[4:5], 0x30
	v_mov_b32_e32 v2, 0
	v_cmp_gt_u32_e32 vcc_lo, s8, v1
	s_waitcnt lgkmcnt(0)
	v_mov_b32_e32 v0, s2
	global_store_dword v2, v0, s[0:1]
	s_and_b32 exec_lo, exec_lo, vcc_lo
	s_cbranch_execz .LBB4_21
; %bb.20:
	ds_read_b32 v3, v4
	v_lshlrev_b64 v[0:1], 2, v[1:2]
	v_add_co_u32 v0, vcc_lo, s0, v0
	v_add_co_ci_u32_e64 v1, null, s1, v1, vcc_lo
	s_waitcnt lgkmcnt(0)
	global_store_dword v[0:1], v3, off offset:4
.LBB4_21:
	s_endpgm
	.section	.rodata,"a",@progbits
	.p2align	6, 0x0
	.amdhsa_kernel _ZN9rocsparseL46csr2bsr_nnz_wavefront_per_row_multipass_kernelILj256ELj32ELj8EiiEEvT3_S1_S1_S1_S1_21rocsparse_index_base_PKT2_PKS1_S2_PS3_
		.amdhsa_group_segment_fixed_size 40
		.amdhsa_private_segment_fixed_size 0
		.amdhsa_kernarg_size 56
		.amdhsa_user_sgpr_count 6
		.amdhsa_user_sgpr_private_segment_buffer 1
		.amdhsa_user_sgpr_dispatch_ptr 0
		.amdhsa_user_sgpr_queue_ptr 0
		.amdhsa_user_sgpr_kernarg_segment_ptr 1
		.amdhsa_user_sgpr_dispatch_id 0
		.amdhsa_user_sgpr_flat_scratch_init 0
		.amdhsa_user_sgpr_private_segment_size 0
		.amdhsa_wavefront_size32 1
		.amdhsa_uses_dynamic_stack 0
		.amdhsa_system_sgpr_private_segment_wavefront_offset 0
		.amdhsa_system_sgpr_workgroup_id_x 1
		.amdhsa_system_sgpr_workgroup_id_y 0
		.amdhsa_system_sgpr_workgroup_id_z 0
		.amdhsa_system_sgpr_workgroup_info 0
		.amdhsa_system_vgpr_workitem_id 0
		.amdhsa_next_free_vgpr 25
		.amdhsa_next_free_sgpr 15
		.amdhsa_reserve_vcc 1
		.amdhsa_reserve_flat_scratch 0
		.amdhsa_float_round_mode_32 0
		.amdhsa_float_round_mode_16_64 0
		.amdhsa_float_denorm_mode_32 3
		.amdhsa_float_denorm_mode_16_64 3
		.amdhsa_dx10_clamp 1
		.amdhsa_ieee_mode 1
		.amdhsa_fp16_overflow 0
		.amdhsa_workgroup_processor_mode 1
		.amdhsa_memory_ordered 1
		.amdhsa_forward_progress 1
		.amdhsa_shared_vgpr_count 0
		.amdhsa_exception_fp_ieee_invalid_op 0
		.amdhsa_exception_fp_denorm_src 0
		.amdhsa_exception_fp_ieee_div_zero 0
		.amdhsa_exception_fp_ieee_overflow 0
		.amdhsa_exception_fp_ieee_underflow 0
		.amdhsa_exception_fp_ieee_inexact 0
		.amdhsa_exception_int_div_zero 0
	.end_amdhsa_kernel
	.section	.text._ZN9rocsparseL46csr2bsr_nnz_wavefront_per_row_multipass_kernelILj256ELj32ELj8EiiEEvT3_S1_S1_S1_S1_21rocsparse_index_base_PKT2_PKS1_S2_PS3_,"axG",@progbits,_ZN9rocsparseL46csr2bsr_nnz_wavefront_per_row_multipass_kernelILj256ELj32ELj8EiiEEvT3_S1_S1_S1_S1_21rocsparse_index_base_PKT2_PKS1_S2_PS3_,comdat
.Lfunc_end4:
	.size	_ZN9rocsparseL46csr2bsr_nnz_wavefront_per_row_multipass_kernelILj256ELj32ELj8EiiEEvT3_S1_S1_S1_S1_21rocsparse_index_base_PKT2_PKS1_S2_PS3_, .Lfunc_end4-_ZN9rocsparseL46csr2bsr_nnz_wavefront_per_row_multipass_kernelILj256ELj32ELj8EiiEEvT3_S1_S1_S1_S1_21rocsparse_index_base_PKT2_PKS1_S2_PS3_
                                        ; -- End function
	.set _ZN9rocsparseL46csr2bsr_nnz_wavefront_per_row_multipass_kernelILj256ELj32ELj8EiiEEvT3_S1_S1_S1_S1_21rocsparse_index_base_PKT2_PKS1_S2_PS3_.num_vgpr, 25
	.set _ZN9rocsparseL46csr2bsr_nnz_wavefront_per_row_multipass_kernelILj256ELj32ELj8EiiEEvT3_S1_S1_S1_S1_21rocsparse_index_base_PKT2_PKS1_S2_PS3_.num_agpr, 0
	.set _ZN9rocsparseL46csr2bsr_nnz_wavefront_per_row_multipass_kernelILj256ELj32ELj8EiiEEvT3_S1_S1_S1_S1_21rocsparse_index_base_PKT2_PKS1_S2_PS3_.numbered_sgpr, 15
	.set _ZN9rocsparseL46csr2bsr_nnz_wavefront_per_row_multipass_kernelILj256ELj32ELj8EiiEEvT3_S1_S1_S1_S1_21rocsparse_index_base_PKT2_PKS1_S2_PS3_.num_named_barrier, 0
	.set _ZN9rocsparseL46csr2bsr_nnz_wavefront_per_row_multipass_kernelILj256ELj32ELj8EiiEEvT3_S1_S1_S1_S1_21rocsparse_index_base_PKT2_PKS1_S2_PS3_.private_seg_size, 0
	.set _ZN9rocsparseL46csr2bsr_nnz_wavefront_per_row_multipass_kernelILj256ELj32ELj8EiiEEvT3_S1_S1_S1_S1_21rocsparse_index_base_PKT2_PKS1_S2_PS3_.uses_vcc, 1
	.set _ZN9rocsparseL46csr2bsr_nnz_wavefront_per_row_multipass_kernelILj256ELj32ELj8EiiEEvT3_S1_S1_S1_S1_21rocsparse_index_base_PKT2_PKS1_S2_PS3_.uses_flat_scratch, 0
	.set _ZN9rocsparseL46csr2bsr_nnz_wavefront_per_row_multipass_kernelILj256ELj32ELj8EiiEEvT3_S1_S1_S1_S1_21rocsparse_index_base_PKT2_PKS1_S2_PS3_.has_dyn_sized_stack, 0
	.set _ZN9rocsparseL46csr2bsr_nnz_wavefront_per_row_multipass_kernelILj256ELj32ELj8EiiEEvT3_S1_S1_S1_S1_21rocsparse_index_base_PKT2_PKS1_S2_PS3_.has_recursion, 0
	.set _ZN9rocsparseL46csr2bsr_nnz_wavefront_per_row_multipass_kernelILj256ELj32ELj8EiiEEvT3_S1_S1_S1_S1_21rocsparse_index_base_PKT2_PKS1_S2_PS3_.has_indirect_call, 0
	.section	.AMDGPU.csdata,"",@progbits
; Kernel info:
; codeLenInByte = 1128
; TotalNumSgprs: 17
; NumVgprs: 25
; ScratchSize: 0
; MemoryBound: 0
; FloatMode: 240
; IeeeMode: 1
; LDSByteSize: 40 bytes/workgroup (compile time only)
; SGPRBlocks: 0
; VGPRBlocks: 3
; NumSGPRsForWavesPerEU: 17
; NumVGPRsForWavesPerEU: 25
; Occupancy: 16
; WaveLimiterHint : 0
; COMPUTE_PGM_RSRC2:SCRATCH_EN: 0
; COMPUTE_PGM_RSRC2:USER_SGPR: 6
; COMPUTE_PGM_RSRC2:TRAP_HANDLER: 0
; COMPUTE_PGM_RSRC2:TGID_X_EN: 1
; COMPUTE_PGM_RSRC2:TGID_Y_EN: 0
; COMPUTE_PGM_RSRC2:TGID_Z_EN: 0
; COMPUTE_PGM_RSRC2:TIDIG_COMP_CNT: 0
	.section	.text._ZN9rocsparseL46csr2bsr_nnz_wavefront_per_row_multipass_kernelILj256ELj64ELj16EiiEEvT3_S1_S1_S1_S1_21rocsparse_index_base_PKT2_PKS1_S2_PS3_,"axG",@progbits,_ZN9rocsparseL46csr2bsr_nnz_wavefront_per_row_multipass_kernelILj256ELj64ELj16EiiEEvT3_S1_S1_S1_S1_21rocsparse_index_base_PKT2_PKS1_S2_PS3_,comdat
	.globl	_ZN9rocsparseL46csr2bsr_nnz_wavefront_per_row_multipass_kernelILj256ELj64ELj16EiiEEvT3_S1_S1_S1_S1_21rocsparse_index_base_PKT2_PKS1_S2_PS3_ ; -- Begin function _ZN9rocsparseL46csr2bsr_nnz_wavefront_per_row_multipass_kernelILj256ELj64ELj16EiiEEvT3_S1_S1_S1_S1_21rocsparse_index_base_PKT2_PKS1_S2_PS3_
	.p2align	8
	.type	_ZN9rocsparseL46csr2bsr_nnz_wavefront_per_row_multipass_kernelILj256ELj64ELj16EiiEEvT3_S1_S1_S1_S1_21rocsparse_index_base_PKT2_PKS1_S2_PS3_,@function
_ZN9rocsparseL46csr2bsr_nnz_wavefront_per_row_multipass_kernelILj256ELj64ELj16EiiEEvT3_S1_S1_S1_S1_21rocsparse_index_base_PKT2_PKS1_S2_PS3_: ; @_ZN9rocsparseL46csr2bsr_nnz_wavefront_per_row_multipass_kernelILj256ELj64ELj16EiiEEvT3_S1_S1_S1_S1_21rocsparse_index_base_PKT2_PKS1_S2_PS3_
; %bb.0:
	s_clause 0x1
	s_load_dwordx4 s[8:11], s[4:5], 0x8
	s_load_dword s0, s[4:5], 0x0
	v_lshrrev_b32_e32 v5, 6, v0
	v_bfe_u32 v7, v0, 2, 4
	s_load_dwordx2 s[2:3], s[4:5], 0x18
	v_mov_b32_e32 v6, 0
	v_mov_b32_e32 v19, 0
	v_lshl_or_b32 v1, s6, 2, v5
	v_lshlrev_b32_e32 v4, 2, v5
	ds_write_b32 v4, v6
	s_waitcnt lgkmcnt(0)
	s_barrier
	buffer_gl0_inv
	v_mad_u64_u32 v[2:3], null, v1, s10, v[7:8]
	v_cmp_gt_i32_e32 vcc_lo, s0, v2
	v_cmp_gt_i32_e64 s0, s10, v7
	s_and_b32 s0, s0, vcc_lo
	s_and_saveexec_b32 s1, s0
	s_cbranch_execz .LBB5_2
; %bb.1:
	v_ashrrev_i32_e32 v3, 31, v2
	v_lshlrev_b64 v[7:8], 2, v[2:3]
	v_add_co_u32 v7, vcc_lo, s2, v7
	v_add_co_ci_u32_e64 v8, null, s3, v8, vcc_lo
	global_load_dword v3, v[7:8], off
	s_waitcnt vmcnt(0)
	v_subrev_nc_u32_e32 v19, s11, v3
.LBB5_2:
	s_or_b32 exec_lo, exec_lo, s1
	s_and_saveexec_b32 s1, s0
	s_cbranch_execz .LBB5_4
; %bb.3:
	v_ashrrev_i32_e32 v3, 31, v2
	v_lshlrev_b64 v[2:3], 2, v[2:3]
	v_add_co_u32 v2, vcc_lo, s2, v2
	v_add_co_ci_u32_e64 v3, null, s3, v3, vcc_lo
	global_load_dword v2, v[2:3], off offset:4
	s_waitcnt vmcnt(0)
	v_subrev_nc_u32_e32 v6, s11, v2
.LBB5_4:
	s_or_b32 exec_lo, exec_lo, s1
	v_and_b32_e32 v7, 63, v0
	s_cmp_lt_i32 s9, 1
	v_cmp_eq_u32_e32 vcc_lo, 0, v7
	s_cbranch_scc1 .LBB5_18
; %bb.5:
	v_mbcnt_lo_u32_b32 v3, -1, 0
	s_abs_i32 s6, s10
	s_load_dwordx2 s[2:3], s[4:5], 0x20
	v_cvt_f32_u32_e32 v2, s6
	s_sub_i32 s1, 0, s6
	v_xor_b32_e32 v12, 2, v3
	v_xor_b32_e32 v13, 1, v3
	v_or_b32_e32 v14, 32, v3
	v_rcp_iflag_f32_e32 v2, v2
	v_xor_b32_e32 v15, 16, v3
	v_cmp_gt_i32_e64 s0, 32, v12
	v_xor_b32_e32 v16, 8, v3
	v_xor_b32_e32 v17, 4, v3
	v_lshl_or_b32 v11, v3, 2, 12
	v_and_b32_e32 v0, 3, v0
	v_cndmask_b32_e64 v12, v3, v12, s0
	v_cmp_gt_i32_e64 s0, 32, v13
	v_bfrev_b32_e32 v8, 0.5
	v_mul_f32_e32 v2, 0x4f7ffffe, v2
	v_mov_b32_e32 v9, 0
	v_mov_b32_e32 v10, 1
	v_cndmask_b32_e64 v13, v3, v13, s0
	v_cmp_gt_i32_e64 s0, 32, v14
	v_cvt_u32_f32_e32 v2, v2
	v_lshlrev_b32_e32 v12, 2, v12
	v_mov_b32_e32 v21, 0
	v_lshlrev_b32_e32 v13, 2, v13
	v_cndmask_b32_e64 v14, v3, v14, s0
	v_cmp_gt_i32_e64 s0, 32, v15
	v_mul_lo_u32 v18, s1, v2
	s_mov_b32 s7, 0
	s_ashr_i32 s10, s10, 31
	v_lshlrev_b32_e32 v14, 2, v14
	v_cndmask_b32_e64 v15, v3, v15, s0
	v_cmp_gt_i32_e64 s0, 32, v16
	v_mul_hi_u32 v18, v2, v18
	v_lshlrev_b32_e32 v15, 2, v15
	v_cndmask_b32_e64 v16, v3, v16, s0
	v_cmp_gt_i32_e64 s0, 32, v17
	v_lshlrev_b32_e32 v16, 2, v16
	v_cndmask_b32_e64 v3, v3, v17, s0
	v_add_nc_u32_e32 v18, v2, v18
	v_lshlrev_b32_e32 v17, 2, v3
	s_branch .LBB5_7
.LBB5_6:                                ;   in Loop: Header=BB5_7 Depth=1
	s_or_b32 exec_lo, exec_lo, s0
	ds_bpermute_b32 v2, v14, v20
	s_waitcnt lgkmcnt(0)
	buffer_gl0_inv
	v_min_i32_e32 v2, v2, v20
	ds_bpermute_b32 v3, v15, v2
	s_waitcnt lgkmcnt(0)
	v_min_i32_e32 v2, v3, v2
	ds_bpermute_b32 v3, v16, v2
	s_waitcnt lgkmcnt(0)
	;; [unrolled: 3-line block ×6, first 2 shown]
	v_cmp_le_i32_e64 s0, s9, v21
	s_or_b32 s7, s0, s7
	s_andn2_b32 exec_lo, exec_lo, s7
	s_cbranch_execz .LBB5_17
.LBB5_7:                                ; =>This Loop Header: Depth=1
                                        ;     Child Loop BB5_10 Depth 2
	v_add_nc_u32_e32 v2, v19, v0
	v_mov_b32_e32 v20, s9
	v_mov_b32_e32 v19, v6
	s_mov_b32 s12, exec_lo
	ds_write_b8 v5, v9 offset:16
	s_waitcnt lgkmcnt(0)
	buffer_gl0_inv
	v_cmpx_lt_i32_e64 v2, v6
	s_cbranch_execz .LBB5_15
; %bb.8:                                ;   in Loop: Header=BB5_7 Depth=1
	v_mov_b32_e32 v20, s9
	v_mov_b32_e32 v19, v6
	s_mov_b32 s13, 0
	s_branch .LBB5_10
.LBB5_9:                                ;   in Loop: Header=BB5_10 Depth=2
	s_or_b32 exec_lo, exec_lo, s1
	v_add_nc_u32_e32 v2, 4, v2
	s_xor_b32 s0, s0, -1
	v_cmp_ge_i32_e64 s1, v2, v6
	s_or_b32 s0, s0, s1
	s_and_b32 s0, exec_lo, s0
	s_or_b32 s13, s0, s13
	s_andn2_b32 exec_lo, exec_lo, s13
	s_cbranch_execz .LBB5_14
.LBB5_10:                               ;   Parent Loop BB5_7 Depth=1
                                        ; =>  This Inner Loop Header: Depth=2
	v_ashrrev_i32_e32 v3, 31, v2
	v_lshlrev_b64 v[22:23], 2, v[2:3]
	v_add_co_u32 v22, s0, s2, v22
	v_add_co_ci_u32_e64 v23, null, s3, v23, s0
	global_load_dword v3, v[22:23], off
	s_waitcnt vmcnt(0)
	v_subrev_nc_u32_e32 v3, s11, v3
	v_sub_nc_u32_e32 v22, 0, v3
	v_max_i32_e32 v22, v3, v22
	v_ashrrev_i32_e32 v3, 31, v3
	v_mul_hi_u32 v23, v22, v18
	v_xor_b32_e32 v3, s10, v3
	v_mul_lo_u32 v24, v23, s6
	v_sub_nc_u32_e32 v22, v22, v24
	v_add_nc_u32_e32 v24, 1, v23
	v_subrev_nc_u32_e32 v25, s6, v22
	v_cmp_le_u32_e64 s0, s6, v22
	v_cndmask_b32_e64 v23, v23, v24, s0
	v_cndmask_b32_e64 v22, v22, v25, s0
	v_add_nc_u32_e32 v24, 1, v23
	v_cmp_le_u32_e64 s0, s6, v22
	v_cndmask_b32_e64 v22, v23, v24, s0
	v_xor_b32_e32 v22, v22, v3
	v_sub_nc_u32_e32 v22, v22, v3
	v_mov_b32_e32 v3, v19
	v_cmp_eq_u32_e64 s0, v22, v21
	v_cmp_ne_u32_e64 s1, v22, v21
	s_and_saveexec_b32 s14, s1
	s_xor_b32 s1, exec_lo, s14
; %bb.11:                               ;   in Loop: Header=BB5_10 Depth=2
	v_min_i32_e32 v20, v22, v20
                                        ; implicit-def: $vgpr3
; %bb.12:                               ;   in Loop: Header=BB5_10 Depth=2
	s_or_saveexec_b32 s1, s1
	v_mov_b32_e32 v19, v2
	s_xor_b32 exec_lo, exec_lo, s1
	s_cbranch_execz .LBB5_9
; %bb.13:                               ;   in Loop: Header=BB5_10 Depth=2
	v_mov_b32_e32 v19, v3
	ds_write_b8 v5, v10 offset:16
	s_branch .LBB5_9
.LBB5_14:                               ;   in Loop: Header=BB5_7 Depth=1
	s_or_b32 exec_lo, exec_lo, s13
.LBB5_15:                               ;   in Loop: Header=BB5_7 Depth=1
	s_or_b32 exec_lo, exec_lo, s12
	ds_bpermute_b32 v2, v12, v19
	s_waitcnt lgkmcnt(0)
	buffer_gl0_inv
	ds_read_u8 v21, v5 offset:16
	v_min_i32_e32 v2, v2, v19
	ds_bpermute_b32 v3, v13, v2
	s_waitcnt lgkmcnt(0)
	v_min_i32_e32 v2, v3, v2
	ds_bpermute_b32 v19, v11, v2
	v_and_b32_e32 v2, 1, v21
	v_cmp_eq_u32_e64 s0, 1, v2
	s_and_b32 s1, vcc_lo, s0
	s_and_saveexec_b32 s0, s1
	s_cbranch_execz .LBB5_6
; %bb.16:                               ;   in Loop: Header=BB5_7 Depth=1
	ds_read_b32 v2, v4
	s_waitcnt lgkmcnt(0)
	v_add_nc_u32_e32 v2, 1, v2
	ds_write_b32 v4, v2
	s_branch .LBB5_6
.LBB5_17:
	s_or_b32 exec_lo, exec_lo, s7
.LBB5_18:
	s_mov_b32 s0, exec_lo
	v_cmpx_eq_u32_e32 0, v7
	s_cbranch_execz .LBB5_21
; %bb.19:
	s_clause 0x1
	s_load_dword s2, s[4:5], 0x28
	s_load_dwordx2 s[0:1], s[4:5], 0x30
	v_mov_b32_e32 v2, 0
	v_cmp_gt_u32_e32 vcc_lo, s8, v1
	s_waitcnt lgkmcnt(0)
	v_mov_b32_e32 v0, s2
	global_store_dword v2, v0, s[0:1]
	s_and_b32 exec_lo, exec_lo, vcc_lo
	s_cbranch_execz .LBB5_21
; %bb.20:
	ds_read_b32 v3, v4
	v_lshlrev_b64 v[0:1], 2, v[1:2]
	v_add_co_u32 v0, vcc_lo, s0, v0
	v_add_co_ci_u32_e64 v1, null, s1, v1, vcc_lo
	s_waitcnt lgkmcnt(0)
	global_store_dword v[0:1], v3, off offset:4
.LBB5_21:
	s_endpgm
	.section	.rodata,"a",@progbits
	.p2align	6, 0x0
	.amdhsa_kernel _ZN9rocsparseL46csr2bsr_nnz_wavefront_per_row_multipass_kernelILj256ELj64ELj16EiiEEvT3_S1_S1_S1_S1_21rocsparse_index_base_PKT2_PKS1_S2_PS3_
		.amdhsa_group_segment_fixed_size 20
		.amdhsa_private_segment_fixed_size 0
		.amdhsa_kernarg_size 56
		.amdhsa_user_sgpr_count 6
		.amdhsa_user_sgpr_private_segment_buffer 1
		.amdhsa_user_sgpr_dispatch_ptr 0
		.amdhsa_user_sgpr_queue_ptr 0
		.amdhsa_user_sgpr_kernarg_segment_ptr 1
		.amdhsa_user_sgpr_dispatch_id 0
		.amdhsa_user_sgpr_flat_scratch_init 0
		.amdhsa_user_sgpr_private_segment_size 0
		.amdhsa_wavefront_size32 1
		.amdhsa_uses_dynamic_stack 0
		.amdhsa_system_sgpr_private_segment_wavefront_offset 0
		.amdhsa_system_sgpr_workgroup_id_x 1
		.amdhsa_system_sgpr_workgroup_id_y 0
		.amdhsa_system_sgpr_workgroup_id_z 0
		.amdhsa_system_sgpr_workgroup_info 0
		.amdhsa_system_vgpr_workitem_id 0
		.amdhsa_next_free_vgpr 26
		.amdhsa_next_free_sgpr 15
		.amdhsa_reserve_vcc 1
		.amdhsa_reserve_flat_scratch 0
		.amdhsa_float_round_mode_32 0
		.amdhsa_float_round_mode_16_64 0
		.amdhsa_float_denorm_mode_32 3
		.amdhsa_float_denorm_mode_16_64 3
		.amdhsa_dx10_clamp 1
		.amdhsa_ieee_mode 1
		.amdhsa_fp16_overflow 0
		.amdhsa_workgroup_processor_mode 1
		.amdhsa_memory_ordered 1
		.amdhsa_forward_progress 1
		.amdhsa_shared_vgpr_count 0
		.amdhsa_exception_fp_ieee_invalid_op 0
		.amdhsa_exception_fp_denorm_src 0
		.amdhsa_exception_fp_ieee_div_zero 0
		.amdhsa_exception_fp_ieee_overflow 0
		.amdhsa_exception_fp_ieee_underflow 0
		.amdhsa_exception_fp_ieee_inexact 0
		.amdhsa_exception_int_div_zero 0
	.end_amdhsa_kernel
	.section	.text._ZN9rocsparseL46csr2bsr_nnz_wavefront_per_row_multipass_kernelILj256ELj64ELj16EiiEEvT3_S1_S1_S1_S1_21rocsparse_index_base_PKT2_PKS1_S2_PS3_,"axG",@progbits,_ZN9rocsparseL46csr2bsr_nnz_wavefront_per_row_multipass_kernelILj256ELj64ELj16EiiEEvT3_S1_S1_S1_S1_21rocsparse_index_base_PKT2_PKS1_S2_PS3_,comdat
.Lfunc_end5:
	.size	_ZN9rocsparseL46csr2bsr_nnz_wavefront_per_row_multipass_kernelILj256ELj64ELj16EiiEEvT3_S1_S1_S1_S1_21rocsparse_index_base_PKT2_PKS1_S2_PS3_, .Lfunc_end5-_ZN9rocsparseL46csr2bsr_nnz_wavefront_per_row_multipass_kernelILj256ELj64ELj16EiiEEvT3_S1_S1_S1_S1_21rocsparse_index_base_PKT2_PKS1_S2_PS3_
                                        ; -- End function
	.set _ZN9rocsparseL46csr2bsr_nnz_wavefront_per_row_multipass_kernelILj256ELj64ELj16EiiEEvT3_S1_S1_S1_S1_21rocsparse_index_base_PKT2_PKS1_S2_PS3_.num_vgpr, 26
	.set _ZN9rocsparseL46csr2bsr_nnz_wavefront_per_row_multipass_kernelILj256ELj64ELj16EiiEEvT3_S1_S1_S1_S1_21rocsparse_index_base_PKT2_PKS1_S2_PS3_.num_agpr, 0
	.set _ZN9rocsparseL46csr2bsr_nnz_wavefront_per_row_multipass_kernelILj256ELj64ELj16EiiEEvT3_S1_S1_S1_S1_21rocsparse_index_base_PKT2_PKS1_S2_PS3_.numbered_sgpr, 15
	.set _ZN9rocsparseL46csr2bsr_nnz_wavefront_per_row_multipass_kernelILj256ELj64ELj16EiiEEvT3_S1_S1_S1_S1_21rocsparse_index_base_PKT2_PKS1_S2_PS3_.num_named_barrier, 0
	.set _ZN9rocsparseL46csr2bsr_nnz_wavefront_per_row_multipass_kernelILj256ELj64ELj16EiiEEvT3_S1_S1_S1_S1_21rocsparse_index_base_PKT2_PKS1_S2_PS3_.private_seg_size, 0
	.set _ZN9rocsparseL46csr2bsr_nnz_wavefront_per_row_multipass_kernelILj256ELj64ELj16EiiEEvT3_S1_S1_S1_S1_21rocsparse_index_base_PKT2_PKS1_S2_PS3_.uses_vcc, 1
	.set _ZN9rocsparseL46csr2bsr_nnz_wavefront_per_row_multipass_kernelILj256ELj64ELj16EiiEEvT3_S1_S1_S1_S1_21rocsparse_index_base_PKT2_PKS1_S2_PS3_.uses_flat_scratch, 0
	.set _ZN9rocsparseL46csr2bsr_nnz_wavefront_per_row_multipass_kernelILj256ELj64ELj16EiiEEvT3_S1_S1_S1_S1_21rocsparse_index_base_PKT2_PKS1_S2_PS3_.has_dyn_sized_stack, 0
	.set _ZN9rocsparseL46csr2bsr_nnz_wavefront_per_row_multipass_kernelILj256ELj64ELj16EiiEEvT3_S1_S1_S1_S1_21rocsparse_index_base_PKT2_PKS1_S2_PS3_.has_recursion, 0
	.set _ZN9rocsparseL46csr2bsr_nnz_wavefront_per_row_multipass_kernelILj256ELj64ELj16EiiEEvT3_S1_S1_S1_S1_21rocsparse_index_base_PKT2_PKS1_S2_PS3_.has_indirect_call, 0
	.section	.AMDGPU.csdata,"",@progbits
; Kernel info:
; codeLenInByte = 1164
; TotalNumSgprs: 17
; NumVgprs: 26
; ScratchSize: 0
; MemoryBound: 0
; FloatMode: 240
; IeeeMode: 1
; LDSByteSize: 20 bytes/workgroup (compile time only)
; SGPRBlocks: 0
; VGPRBlocks: 3
; NumSGPRsForWavesPerEU: 17
; NumVGPRsForWavesPerEU: 26
; Occupancy: 16
; WaveLimiterHint : 0
; COMPUTE_PGM_RSRC2:SCRATCH_EN: 0
; COMPUTE_PGM_RSRC2:USER_SGPR: 6
; COMPUTE_PGM_RSRC2:TRAP_HANDLER: 0
; COMPUTE_PGM_RSRC2:TGID_X_EN: 1
; COMPUTE_PGM_RSRC2:TGID_Y_EN: 0
; COMPUTE_PGM_RSRC2:TGID_Z_EN: 0
; COMPUTE_PGM_RSRC2:TIDIG_COMP_CNT: 0
	.section	.text._ZN9rocsparseL46csr2bsr_nnz_wavefront_per_row_multipass_kernelILj256ELj32ELj16EiiEEvT3_S1_S1_S1_S1_21rocsparse_index_base_PKT2_PKS1_S2_PS3_,"axG",@progbits,_ZN9rocsparseL46csr2bsr_nnz_wavefront_per_row_multipass_kernelILj256ELj32ELj16EiiEEvT3_S1_S1_S1_S1_21rocsparse_index_base_PKT2_PKS1_S2_PS3_,comdat
	.globl	_ZN9rocsparseL46csr2bsr_nnz_wavefront_per_row_multipass_kernelILj256ELj32ELj16EiiEEvT3_S1_S1_S1_S1_21rocsparse_index_base_PKT2_PKS1_S2_PS3_ ; -- Begin function _ZN9rocsparseL46csr2bsr_nnz_wavefront_per_row_multipass_kernelILj256ELj32ELj16EiiEEvT3_S1_S1_S1_S1_21rocsparse_index_base_PKT2_PKS1_S2_PS3_
	.p2align	8
	.type	_ZN9rocsparseL46csr2bsr_nnz_wavefront_per_row_multipass_kernelILj256ELj32ELj16EiiEEvT3_S1_S1_S1_S1_21rocsparse_index_base_PKT2_PKS1_S2_PS3_,@function
_ZN9rocsparseL46csr2bsr_nnz_wavefront_per_row_multipass_kernelILj256ELj32ELj16EiiEEvT3_S1_S1_S1_S1_21rocsparse_index_base_PKT2_PKS1_S2_PS3_: ; @_ZN9rocsparseL46csr2bsr_nnz_wavefront_per_row_multipass_kernelILj256ELj32ELj16EiiEEvT3_S1_S1_S1_S1_21rocsparse_index_base_PKT2_PKS1_S2_PS3_
; %bb.0:
	s_clause 0x1
	s_load_dwordx4 s[8:11], s[4:5], 0x8
	s_load_dword s0, s[4:5], 0x0
	v_lshrrev_b32_e32 v5, 5, v0
	v_bfe_u32 v7, v0, 1, 4
	s_load_dwordx2 s[2:3], s[4:5], 0x18
	v_mov_b32_e32 v6, 0
	v_mov_b32_e32 v18, 0
	v_lshl_or_b32 v1, s6, 3, v5
	v_lshlrev_b32_e32 v4, 2, v5
	ds_write_b32 v4, v6
	s_waitcnt lgkmcnt(0)
	s_barrier
	buffer_gl0_inv
	v_mad_u64_u32 v[2:3], null, v1, s10, v[7:8]
	v_cmp_gt_i32_e32 vcc_lo, s0, v2
	v_cmp_gt_i32_e64 s0, s10, v7
	s_and_b32 s0, s0, vcc_lo
	s_and_saveexec_b32 s1, s0
	s_cbranch_execz .LBB6_2
; %bb.1:
	v_ashrrev_i32_e32 v3, 31, v2
	v_lshlrev_b64 v[7:8], 2, v[2:3]
	v_add_co_u32 v7, vcc_lo, s2, v7
	v_add_co_ci_u32_e64 v8, null, s3, v8, vcc_lo
	global_load_dword v3, v[7:8], off
	s_waitcnt vmcnt(0)
	v_subrev_nc_u32_e32 v18, s11, v3
.LBB6_2:
	s_or_b32 exec_lo, exec_lo, s1
	s_and_saveexec_b32 s1, s0
	s_cbranch_execz .LBB6_4
; %bb.3:
	v_ashrrev_i32_e32 v3, 31, v2
	v_lshlrev_b64 v[2:3], 2, v[2:3]
	v_add_co_u32 v2, vcc_lo, s2, v2
	v_add_co_ci_u32_e64 v3, null, s3, v3, vcc_lo
	global_load_dword v2, v[2:3], off offset:4
	s_waitcnt vmcnt(0)
	v_subrev_nc_u32_e32 v6, s11, v2
.LBB6_4:
	s_or_b32 exec_lo, exec_lo, s1
	v_and_b32_e32 v7, 31, v0
	s_cmp_lt_i32 s9, 1
	v_cmp_eq_u32_e32 vcc_lo, 0, v7
	s_cbranch_scc1 .LBB6_18
; %bb.5:
	s_abs_i32 s6, s10
	v_mbcnt_lo_u32_b32 v3, -1, 0
	v_cvt_f32_u32_e32 v2, s6
	s_sub_i32 s0, 0, s6
	s_load_dwordx2 s[2:3], s[4:5], 0x20
	v_and_b32_e32 v0, 1, v0
	v_xor_b32_e32 v12, 1, v3
	v_rcp_iflag_f32_e32 v2, v2
	v_xor_b32_e32 v13, 16, v3
	v_xor_b32_e32 v14, 8, v3
	;; [unrolled: 1-line block ×4, first 2 shown]
	v_lshl_or_b32 v11, v3, 2, 4
	v_mov_b32_e32 v8, 0x7c
	v_mov_b32_e32 v9, 0
	;; [unrolled: 1-line block ×4, first 2 shown]
	v_mul_f32_e32 v2, 0x4f7ffffe, v2
	s_mov_b32 s7, 0
	s_ashr_i32 s10, s10, 31
	v_cvt_u32_f32_e32 v2, v2
	v_mul_lo_u32 v17, s0, v2
	v_cmp_gt_i32_e64 s0, 32, v12
	v_cndmask_b32_e64 v12, v3, v12, s0
	v_cmp_gt_i32_e64 s0, 32, v13
	v_mul_hi_u32 v17, v2, v17
	v_lshlrev_b32_e32 v12, 2, v12
	v_cndmask_b32_e64 v13, v3, v13, s0
	v_cmp_gt_i32_e64 s0, 32, v14
	v_add_nc_u32_e32 v17, v2, v17
	v_lshlrev_b32_e32 v13, 2, v13
	v_cndmask_b32_e64 v14, v3, v14, s0
	v_cmp_gt_i32_e64 s0, 32, v15
	v_lshlrev_b32_e32 v14, 2, v14
	v_cndmask_b32_e64 v15, v3, v15, s0
	v_cmp_gt_i32_e64 s0, 32, v16
	v_lshlrev_b32_e32 v15, 2, v15
	v_cndmask_b32_e64 v3, v3, v16, s0
	v_lshlrev_b32_e32 v16, 2, v3
	s_branch .LBB6_7
.LBB6_6:                                ;   in Loop: Header=BB6_7 Depth=1
	s_or_b32 exec_lo, exec_lo, s0
	ds_bpermute_b32 v2, v13, v19
	s_waitcnt lgkmcnt(0)
	buffer_gl0_inv
	v_min_i32_e32 v2, v2, v19
	ds_bpermute_b32 v3, v14, v2
	s_waitcnt lgkmcnt(0)
	v_min_i32_e32 v2, v3, v2
	ds_bpermute_b32 v3, v15, v2
	s_waitcnt lgkmcnt(0)
	;; [unrolled: 3-line block ×5, first 2 shown]
	v_cmp_le_i32_e64 s0, s9, v20
	s_or_b32 s7, s0, s7
	s_andn2_b32 exec_lo, exec_lo, s7
	s_cbranch_execz .LBB6_17
.LBB6_7:                                ; =>This Loop Header: Depth=1
                                        ;     Child Loop BB6_10 Depth 2
	v_add_nc_u32_e32 v2, v18, v0
	v_mov_b32_e32 v19, s9
	v_mov_b32_e32 v18, v6
	s_mov_b32 s12, exec_lo
	ds_write_b8 v5, v9 offset:32
	s_waitcnt lgkmcnt(0)
	buffer_gl0_inv
	v_cmpx_lt_i32_e64 v2, v6
	s_cbranch_execz .LBB6_15
; %bb.8:                                ;   in Loop: Header=BB6_7 Depth=1
	v_mov_b32_e32 v19, s9
	v_mov_b32_e32 v18, v6
	s_mov_b32 s13, 0
	s_branch .LBB6_10
.LBB6_9:                                ;   in Loop: Header=BB6_10 Depth=2
	s_or_b32 exec_lo, exec_lo, s1
	v_add_nc_u32_e32 v2, 2, v2
	s_xor_b32 s0, s0, -1
	v_cmp_ge_i32_e64 s1, v2, v6
	s_or_b32 s0, s0, s1
	s_and_b32 s0, exec_lo, s0
	s_or_b32 s13, s0, s13
	s_andn2_b32 exec_lo, exec_lo, s13
	s_cbranch_execz .LBB6_14
.LBB6_10:                               ;   Parent Loop BB6_7 Depth=1
                                        ; =>  This Inner Loop Header: Depth=2
	v_ashrrev_i32_e32 v3, 31, v2
	v_lshlrev_b64 v[21:22], 2, v[2:3]
	v_add_co_u32 v21, s0, s2, v21
	v_add_co_ci_u32_e64 v22, null, s3, v22, s0
	global_load_dword v3, v[21:22], off
	s_waitcnt vmcnt(0)
	v_subrev_nc_u32_e32 v3, s11, v3
	v_sub_nc_u32_e32 v21, 0, v3
	v_max_i32_e32 v21, v3, v21
	v_ashrrev_i32_e32 v3, 31, v3
	v_mul_hi_u32 v22, v21, v17
	v_xor_b32_e32 v3, s10, v3
	v_mul_lo_u32 v23, v22, s6
	v_sub_nc_u32_e32 v21, v21, v23
	v_add_nc_u32_e32 v23, 1, v22
	v_subrev_nc_u32_e32 v24, s6, v21
	v_cmp_le_u32_e64 s0, s6, v21
	v_cndmask_b32_e64 v22, v22, v23, s0
	v_cndmask_b32_e64 v21, v21, v24, s0
	v_add_nc_u32_e32 v23, 1, v22
	v_cmp_le_u32_e64 s0, s6, v21
	v_cndmask_b32_e64 v21, v22, v23, s0
	v_xor_b32_e32 v21, v21, v3
	v_sub_nc_u32_e32 v21, v21, v3
	v_mov_b32_e32 v3, v18
	v_cmp_eq_u32_e64 s0, v21, v20
	v_cmp_ne_u32_e64 s1, v21, v20
	s_and_saveexec_b32 s14, s1
	s_xor_b32 s1, exec_lo, s14
; %bb.11:                               ;   in Loop: Header=BB6_10 Depth=2
	v_min_i32_e32 v19, v21, v19
                                        ; implicit-def: $vgpr3
; %bb.12:                               ;   in Loop: Header=BB6_10 Depth=2
	s_or_saveexec_b32 s1, s1
	v_mov_b32_e32 v18, v2
	s_xor_b32 exec_lo, exec_lo, s1
	s_cbranch_execz .LBB6_9
; %bb.13:                               ;   in Loop: Header=BB6_10 Depth=2
	v_mov_b32_e32 v18, v3
	ds_write_b8 v5, v10 offset:32
	s_branch .LBB6_9
.LBB6_14:                               ;   in Loop: Header=BB6_7 Depth=1
	s_or_b32 exec_lo, exec_lo, s13
.LBB6_15:                               ;   in Loop: Header=BB6_7 Depth=1
	s_or_b32 exec_lo, exec_lo, s12
	ds_bpermute_b32 v2, v12, v18
	s_waitcnt lgkmcnt(0)
	buffer_gl0_inv
	ds_read_u8 v3, v5 offset:32
	v_min_i32_e32 v2, v2, v18
	ds_bpermute_b32 v18, v11, v2
	s_waitcnt lgkmcnt(1)
	v_and_b32_e32 v2, 1, v3
	v_cmp_eq_u32_e64 s0, 1, v2
	s_and_b32 s1, vcc_lo, s0
	s_and_saveexec_b32 s0, s1
	s_cbranch_execz .LBB6_6
; %bb.16:                               ;   in Loop: Header=BB6_7 Depth=1
	ds_read_b32 v2, v4
	s_waitcnt lgkmcnt(0)
	v_add_nc_u32_e32 v2, 1, v2
	ds_write_b32 v4, v2
	s_branch .LBB6_6
.LBB6_17:
	s_or_b32 exec_lo, exec_lo, s7
.LBB6_18:
	s_mov_b32 s0, exec_lo
	v_cmpx_eq_u32_e32 0, v7
	s_cbranch_execz .LBB6_21
; %bb.19:
	s_clause 0x1
	s_load_dword s2, s[4:5], 0x28
	s_load_dwordx2 s[0:1], s[4:5], 0x30
	v_mov_b32_e32 v2, 0
	v_cmp_gt_u32_e32 vcc_lo, s8, v1
	s_waitcnt lgkmcnt(0)
	v_mov_b32_e32 v0, s2
	global_store_dword v2, v0, s[0:1]
	s_and_b32 exec_lo, exec_lo, vcc_lo
	s_cbranch_execz .LBB6_21
; %bb.20:
	ds_read_b32 v3, v4
	v_lshlrev_b64 v[0:1], 2, v[1:2]
	v_add_co_u32 v0, vcc_lo, s0, v0
	v_add_co_ci_u32_e64 v1, null, s1, v1, vcc_lo
	s_waitcnt lgkmcnt(0)
	global_store_dword v[0:1], v3, off offset:4
.LBB6_21:
	s_endpgm
	.section	.rodata,"a",@progbits
	.p2align	6, 0x0
	.amdhsa_kernel _ZN9rocsparseL46csr2bsr_nnz_wavefront_per_row_multipass_kernelILj256ELj32ELj16EiiEEvT3_S1_S1_S1_S1_21rocsparse_index_base_PKT2_PKS1_S2_PS3_
		.amdhsa_group_segment_fixed_size 40
		.amdhsa_private_segment_fixed_size 0
		.amdhsa_kernarg_size 56
		.amdhsa_user_sgpr_count 6
		.amdhsa_user_sgpr_private_segment_buffer 1
		.amdhsa_user_sgpr_dispatch_ptr 0
		.amdhsa_user_sgpr_queue_ptr 0
		.amdhsa_user_sgpr_kernarg_segment_ptr 1
		.amdhsa_user_sgpr_dispatch_id 0
		.amdhsa_user_sgpr_flat_scratch_init 0
		.amdhsa_user_sgpr_private_segment_size 0
		.amdhsa_wavefront_size32 1
		.amdhsa_uses_dynamic_stack 0
		.amdhsa_system_sgpr_private_segment_wavefront_offset 0
		.amdhsa_system_sgpr_workgroup_id_x 1
		.amdhsa_system_sgpr_workgroup_id_y 0
		.amdhsa_system_sgpr_workgroup_id_z 0
		.amdhsa_system_sgpr_workgroup_info 0
		.amdhsa_system_vgpr_workitem_id 0
		.amdhsa_next_free_vgpr 25
		.amdhsa_next_free_sgpr 15
		.amdhsa_reserve_vcc 1
		.amdhsa_reserve_flat_scratch 0
		.amdhsa_float_round_mode_32 0
		.amdhsa_float_round_mode_16_64 0
		.amdhsa_float_denorm_mode_32 3
		.amdhsa_float_denorm_mode_16_64 3
		.amdhsa_dx10_clamp 1
		.amdhsa_ieee_mode 1
		.amdhsa_fp16_overflow 0
		.amdhsa_workgroup_processor_mode 1
		.amdhsa_memory_ordered 1
		.amdhsa_forward_progress 1
		.amdhsa_shared_vgpr_count 0
		.amdhsa_exception_fp_ieee_invalid_op 0
		.amdhsa_exception_fp_denorm_src 0
		.amdhsa_exception_fp_ieee_div_zero 0
		.amdhsa_exception_fp_ieee_overflow 0
		.amdhsa_exception_fp_ieee_underflow 0
		.amdhsa_exception_fp_ieee_inexact 0
		.amdhsa_exception_int_div_zero 0
	.end_amdhsa_kernel
	.section	.text._ZN9rocsparseL46csr2bsr_nnz_wavefront_per_row_multipass_kernelILj256ELj32ELj16EiiEEvT3_S1_S1_S1_S1_21rocsparse_index_base_PKT2_PKS1_S2_PS3_,"axG",@progbits,_ZN9rocsparseL46csr2bsr_nnz_wavefront_per_row_multipass_kernelILj256ELj32ELj16EiiEEvT3_S1_S1_S1_S1_21rocsparse_index_base_PKT2_PKS1_S2_PS3_,comdat
.Lfunc_end6:
	.size	_ZN9rocsparseL46csr2bsr_nnz_wavefront_per_row_multipass_kernelILj256ELj32ELj16EiiEEvT3_S1_S1_S1_S1_21rocsparse_index_base_PKT2_PKS1_S2_PS3_, .Lfunc_end6-_ZN9rocsparseL46csr2bsr_nnz_wavefront_per_row_multipass_kernelILj256ELj32ELj16EiiEEvT3_S1_S1_S1_S1_21rocsparse_index_base_PKT2_PKS1_S2_PS3_
                                        ; -- End function
	.set _ZN9rocsparseL46csr2bsr_nnz_wavefront_per_row_multipass_kernelILj256ELj32ELj16EiiEEvT3_S1_S1_S1_S1_21rocsparse_index_base_PKT2_PKS1_S2_PS3_.num_vgpr, 25
	.set _ZN9rocsparseL46csr2bsr_nnz_wavefront_per_row_multipass_kernelILj256ELj32ELj16EiiEEvT3_S1_S1_S1_S1_21rocsparse_index_base_PKT2_PKS1_S2_PS3_.num_agpr, 0
	.set _ZN9rocsparseL46csr2bsr_nnz_wavefront_per_row_multipass_kernelILj256ELj32ELj16EiiEEvT3_S1_S1_S1_S1_21rocsparse_index_base_PKT2_PKS1_S2_PS3_.numbered_sgpr, 15
	.set _ZN9rocsparseL46csr2bsr_nnz_wavefront_per_row_multipass_kernelILj256ELj32ELj16EiiEEvT3_S1_S1_S1_S1_21rocsparse_index_base_PKT2_PKS1_S2_PS3_.num_named_barrier, 0
	.set _ZN9rocsparseL46csr2bsr_nnz_wavefront_per_row_multipass_kernelILj256ELj32ELj16EiiEEvT3_S1_S1_S1_S1_21rocsparse_index_base_PKT2_PKS1_S2_PS3_.private_seg_size, 0
	.set _ZN9rocsparseL46csr2bsr_nnz_wavefront_per_row_multipass_kernelILj256ELj32ELj16EiiEEvT3_S1_S1_S1_S1_21rocsparse_index_base_PKT2_PKS1_S2_PS3_.uses_vcc, 1
	.set _ZN9rocsparseL46csr2bsr_nnz_wavefront_per_row_multipass_kernelILj256ELj32ELj16EiiEEvT3_S1_S1_S1_S1_21rocsparse_index_base_PKT2_PKS1_S2_PS3_.uses_flat_scratch, 0
	.set _ZN9rocsparseL46csr2bsr_nnz_wavefront_per_row_multipass_kernelILj256ELj32ELj16EiiEEvT3_S1_S1_S1_S1_21rocsparse_index_base_PKT2_PKS1_S2_PS3_.has_dyn_sized_stack, 0
	.set _ZN9rocsparseL46csr2bsr_nnz_wavefront_per_row_multipass_kernelILj256ELj32ELj16EiiEEvT3_S1_S1_S1_S1_21rocsparse_index_base_PKT2_PKS1_S2_PS3_.has_recursion, 0
	.set _ZN9rocsparseL46csr2bsr_nnz_wavefront_per_row_multipass_kernelILj256ELj32ELj16EiiEEvT3_S1_S1_S1_S1_21rocsparse_index_base_PKT2_PKS1_S2_PS3_.has_indirect_call, 0
	.section	.AMDGPU.csdata,"",@progbits
; Kernel info:
; codeLenInByte = 1116
; TotalNumSgprs: 17
; NumVgprs: 25
; ScratchSize: 0
; MemoryBound: 0
; FloatMode: 240
; IeeeMode: 1
; LDSByteSize: 40 bytes/workgroup (compile time only)
; SGPRBlocks: 0
; VGPRBlocks: 3
; NumSGPRsForWavesPerEU: 17
; NumVGPRsForWavesPerEU: 25
; Occupancy: 16
; WaveLimiterHint : 0
; COMPUTE_PGM_RSRC2:SCRATCH_EN: 0
; COMPUTE_PGM_RSRC2:USER_SGPR: 6
; COMPUTE_PGM_RSRC2:TRAP_HANDLER: 0
; COMPUTE_PGM_RSRC2:TGID_X_EN: 1
; COMPUTE_PGM_RSRC2:TGID_Y_EN: 0
; COMPUTE_PGM_RSRC2:TGID_Z_EN: 0
; COMPUTE_PGM_RSRC2:TIDIG_COMP_CNT: 0
	.section	.text._ZN9rocsparseL42csr2bsr_nnz_block_per_row_multipass_kernelILj256ELj32EiiEEvT2_S1_S1_S1_S1_21rocsparse_index_base_PKT1_PKS1_S2_PS3_,"axG",@progbits,_ZN9rocsparseL42csr2bsr_nnz_block_per_row_multipass_kernelILj256ELj32EiiEEvT2_S1_S1_S1_S1_21rocsparse_index_base_PKT1_PKS1_S2_PS3_,comdat
	.globl	_ZN9rocsparseL42csr2bsr_nnz_block_per_row_multipass_kernelILj256ELj32EiiEEvT2_S1_S1_S1_S1_21rocsparse_index_base_PKT1_PKS1_S2_PS3_ ; -- Begin function _ZN9rocsparseL42csr2bsr_nnz_block_per_row_multipass_kernelILj256ELj32EiiEEvT2_S1_S1_S1_S1_21rocsparse_index_base_PKT1_PKS1_S2_PS3_
	.p2align	8
	.type	_ZN9rocsparseL42csr2bsr_nnz_block_per_row_multipass_kernelILj256ELj32EiiEEvT2_S1_S1_S1_S1_21rocsparse_index_base_PKT1_PKS1_S2_PS3_,@function
_ZN9rocsparseL42csr2bsr_nnz_block_per_row_multipass_kernelILj256ELj32EiiEEvT2_S1_S1_S1_S1_21rocsparse_index_base_PKT1_PKS1_S2_PS3_: ; @_ZN9rocsparseL42csr2bsr_nnz_block_per_row_multipass_kernelILj256ELj32EiiEEvT2_S1_S1_S1_S1_21rocsparse_index_base_PKT1_PKS1_S2_PS3_
; %bb.0:
	s_clause 0x1
	s_load_dwordx4 s[12:15], s[4:5], 0xc
	s_load_dword s0, s[4:5], 0x0
	v_lshrrev_b32_e32 v4, 3, v0
	s_load_dwordx2 s[2:3], s[4:5], 0x18
	v_mov_b32_e32 v3, 0
	v_mov_b32_e32 v13, 0
	ds_write_b32 v3, v3 offset:1024
	s_waitcnt lgkmcnt(0)
	s_barrier
	buffer_gl0_inv
	v_mad_u64_u32 v[1:2], null, s13, s6, v[4:5]
	v_cmp_gt_i32_e32 vcc_lo, s0, v1
	v_cmp_gt_i32_e64 s0, s13, v4
	s_and_b32 s0, s0, vcc_lo
	s_and_saveexec_b32 s1, s0
	s_cbranch_execnz .LBB7_3
; %bb.1:
	s_or_b32 exec_lo, exec_lo, s1
	s_and_saveexec_b32 s1, s0
	s_cbranch_execnz .LBB7_4
.LBB7_2:
	s_or_b32 exec_lo, exec_lo, s1
	v_cmp_eq_u32_e64 s0, 0, v0
	s_cmp_lt_i32 s12, 1
	s_cbranch_scc0 .LBB7_5
	s_branch .LBB7_33
.LBB7_3:
	v_ashrrev_i32_e32 v2, 31, v1
	v_lshlrev_b64 v[4:5], 2, v[1:2]
	v_add_co_u32 v4, vcc_lo, s2, v4
	v_add_co_ci_u32_e64 v5, null, s3, v5, vcc_lo
	global_load_dword v2, v[4:5], off
	s_waitcnt vmcnt(0)
	v_subrev_nc_u32_e32 v13, s14, v2
	s_or_b32 exec_lo, exec_lo, s1
	s_and_saveexec_b32 s1, s0
	s_cbranch_execz .LBB7_2
.LBB7_4:
	v_ashrrev_i32_e32 v2, 31, v1
	v_lshlrev_b64 v[1:2], 2, v[1:2]
	v_add_co_u32 v1, vcc_lo, s2, v1
	v_add_co_ci_u32_e64 v2, null, s3, v2, vcc_lo
	global_load_dword v1, v[1:2], off offset:4
	s_waitcnt vmcnt(0)
	v_subrev_nc_u32_e32 v3, s14, v1
	s_or_b32 exec_lo, exec_lo, s1
	v_cmp_eq_u32_e64 s0, 0, v0
	s_cmp_lt_i32 s12, 1
	s_cbranch_scc1 .LBB7_33
.LBB7_5:
	s_abs_i32 s15, s13
	v_mbcnt_lo_u32_b32 v2, -1, 0
	v_cvt_f32_u32_e32 v1, s15
	s_sub_i32 s11, 0, s15
	s_load_dwordx2 s[16:17], s[4:5], 0x20
	v_and_b32_e32 v4, 7, v0
	v_xor_b32_e32 v7, 4, v2
	v_rcp_iflag_f32_e32 v1, v1
	v_xor_b32_e32 v9, 2, v2
	v_xor_b32_e32 v10, 1, v2
	v_lshlrev_b32_e32 v5, 2, v0
	v_cmp_gt_i32_e32 vcc_lo, 32, v7
	v_cmp_gt_u32_e64 s1, 0x80, v0
	v_cmp_gt_u32_e64 s2, 64, v0
	;; [unrolled: 1-line block ×4, first 2 shown]
	v_cndmask_b32_e32 v11, v2, v7, vcc_lo
	v_mul_f32_e32 v1, 0x4f7ffffe, v1
	v_cmp_gt_i32_e32 vcc_lo, 32, v9
	v_cmp_gt_u32_e64 s8, 8, v0
	v_cmp_gt_u32_e64 s9, 4, v0
	;; [unrolled: 1-line block ×3, first 2 shown]
	v_cvt_u32_f32_e32 v1, v1
	v_cndmask_b32_e32 v12, v2, v9, vcc_lo
	v_cmp_gt_i32_e32 vcc_lo, 32, v10
	v_mov_b32_e32 v6, 0
	v_mov_b32_e32 v7, 1
	v_mul_lo_u32 v8, s11, v1
	v_lshlrev_b32_e32 v9, 2, v11
	v_cndmask_b32_e32 v15, v2, v10, vcc_lo
	v_lshlrev_b32_e32 v10, 2, v12
	s_ashr_i32 s13, s13, 31
	v_lshlrev_b32_e32 v11, 2, v15
	v_mul_hi_u32 v14, v1, v8
	v_lshl_or_b32 v8, v2, 2, 28
	v_mov_b32_e32 v15, 0
	v_add_nc_u32_e32 v12, v1, v14
	s_branch .LBB7_7
.LBB7_6:                                ;   in Loop: Header=BB7_7 Depth=1
	s_or_b32 exec_lo, exec_lo, s11
	s_waitcnt lgkmcnt(0)
	s_barrier
	buffer_gl0_inv
	ds_read_b32 v15, v6
	s_waitcnt lgkmcnt(0)
	s_barrier
	buffer_gl0_inv
	v_cmp_gt_i32_e32 vcc_lo, s12, v15
	s_cbranch_vccz .LBB7_33
.LBB7_7:                                ; =>This Loop Header: Depth=1
                                        ;     Child Loop BB7_10 Depth 2
	v_add_nc_u32_e32 v1, v13, v4
	v_mov_b32_e32 v14, s12
	v_mov_b32_e32 v13, v3
	s_mov_b32 s18, exec_lo
	ds_write_b8 v6, v6 offset:1028
	s_waitcnt lgkmcnt(0)
	s_barrier
	buffer_gl0_inv
	v_cmpx_lt_i32_e64 v1, v3
	s_cbranch_execz .LBB7_15
; %bb.8:                                ;   in Loop: Header=BB7_7 Depth=1
	v_mov_b32_e32 v14, s12
	v_mov_b32_e32 v13, v3
	s_mov_b32 s19, 0
	s_branch .LBB7_10
.LBB7_9:                                ;   in Loop: Header=BB7_10 Depth=2
	s_or_b32 exec_lo, exec_lo, s11
	v_add_nc_u32_e32 v1, 8, v1
	s_xor_b32 s20, vcc_lo, -1
	v_cmp_ge_i32_e64 s11, v1, v3
	s_or_b32 s11, s20, s11
	s_and_b32 s11, exec_lo, s11
	s_or_b32 s19, s11, s19
	s_andn2_b32 exec_lo, exec_lo, s19
	s_cbranch_execz .LBB7_14
.LBB7_10:                               ;   Parent Loop BB7_7 Depth=1
                                        ; =>  This Inner Loop Header: Depth=2
	v_ashrrev_i32_e32 v2, 31, v1
	v_lshlrev_b64 v[16:17], 2, v[1:2]
	v_add_co_u32 v16, vcc_lo, s16, v16
	v_add_co_ci_u32_e64 v17, null, s17, v17, vcc_lo
	global_load_dword v2, v[16:17], off
	s_waitcnt vmcnt(0)
	v_subrev_nc_u32_e32 v2, s14, v2
	v_sub_nc_u32_e32 v16, 0, v2
	v_max_i32_e32 v16, v2, v16
	v_ashrrev_i32_e32 v2, 31, v2
	v_mul_hi_u32 v17, v16, v12
	v_xor_b32_e32 v2, s13, v2
	v_mul_lo_u32 v18, v17, s15
	v_sub_nc_u32_e32 v16, v16, v18
	v_add_nc_u32_e32 v18, 1, v17
	v_subrev_nc_u32_e32 v19, s15, v16
	v_cmp_le_u32_e32 vcc_lo, s15, v16
	v_cndmask_b32_e32 v17, v17, v18, vcc_lo
	v_cndmask_b32_e32 v16, v16, v19, vcc_lo
	v_add_nc_u32_e32 v18, 1, v17
	v_cmp_le_u32_e32 vcc_lo, s15, v16
	v_cndmask_b32_e32 v16, v17, v18, vcc_lo
	v_xor_b32_e32 v16, v16, v2
	v_sub_nc_u32_e32 v16, v16, v2
	v_mov_b32_e32 v2, v13
	v_cmp_ne_u32_e64 s11, v16, v15
	v_cmp_eq_u32_e32 vcc_lo, v16, v15
	s_and_saveexec_b32 s20, s11
	s_xor_b32 s11, exec_lo, s20
; %bb.11:                               ;   in Loop: Header=BB7_10 Depth=2
	v_min_i32_e32 v14, v16, v14
                                        ; implicit-def: $vgpr2
; %bb.12:                               ;   in Loop: Header=BB7_10 Depth=2
	s_or_saveexec_b32 s11, s11
	v_mov_b32_e32 v13, v1
	s_xor_b32 exec_lo, exec_lo, s11
	s_cbranch_execz .LBB7_9
; %bb.13:                               ;   in Loop: Header=BB7_10 Depth=2
	v_mov_b32_e32 v13, v2
	ds_write_b8 v6, v7 offset:1028
	s_branch .LBB7_9
.LBB7_14:                               ;   in Loop: Header=BB7_7 Depth=1
	s_or_b32 exec_lo, exec_lo, s19
.LBB7_15:                               ;   in Loop: Header=BB7_7 Depth=1
	s_or_b32 exec_lo, exec_lo, s18
	ds_bpermute_b32 v1, v9, v13
	s_waitcnt lgkmcnt(0)
	s_barrier
	buffer_gl0_inv
	ds_read_u8 v15, v6 offset:1028
	v_min_i32_e32 v1, v1, v13
	s_waitcnt lgkmcnt(0)
	v_readfirstlane_b32 s11, v15
	ds_bpermute_b32 v2, v10, v1
	s_bitcmp1_b32 s11, 0
	s_cselect_b32 s11, -1, 0
	s_and_b32 s18, s0, s11
	s_waitcnt lgkmcnt(0)
	v_min_i32_e32 v1, v2, v1
	ds_bpermute_b32 v2, v11, v1
	s_waitcnt lgkmcnt(0)
	v_min_i32_e32 v1, v2, v1
	ds_bpermute_b32 v13, v8, v1
	s_and_saveexec_b32 s11, s18
	s_cbranch_execz .LBB7_17
; %bb.16:                               ;   in Loop: Header=BB7_7 Depth=1
	ds_read_b32 v1, v6 offset:1024
	s_waitcnt lgkmcnt(0)
	v_add_nc_u32_e32 v1, 1, v1
	ds_write_b32 v6, v1 offset:1024
.LBB7_17:                               ;   in Loop: Header=BB7_7 Depth=1
	s_or_b32 exec_lo, exec_lo, s11
	ds_write_b32 v5, v14
	s_waitcnt lgkmcnt(0)
	s_barrier
	buffer_gl0_inv
	s_and_saveexec_b32 s11, s1
	s_cbranch_execz .LBB7_19
; %bb.18:                               ;   in Loop: Header=BB7_7 Depth=1
	ds_read2st64_b32 v[1:2], v5 offset1:2
	s_waitcnt lgkmcnt(0)
	v_min_i32_e32 v1, v2, v1
	ds_write_b32 v5, v1
.LBB7_19:                               ;   in Loop: Header=BB7_7 Depth=1
	s_or_b32 exec_lo, exec_lo, s11
	s_waitcnt lgkmcnt(0)
	s_barrier
	buffer_gl0_inv
	s_and_saveexec_b32 s11, s2
	s_cbranch_execz .LBB7_21
; %bb.20:                               ;   in Loop: Header=BB7_7 Depth=1
	ds_read2st64_b32 v[1:2], v5 offset1:1
	s_waitcnt lgkmcnt(0)
	v_min_i32_e32 v1, v2, v1
	ds_write_b32 v5, v1
.LBB7_21:                               ;   in Loop: Header=BB7_7 Depth=1
	s_or_b32 exec_lo, exec_lo, s11
	s_waitcnt lgkmcnt(0)
	s_barrier
	buffer_gl0_inv
	s_and_saveexec_b32 s11, s3
	s_cbranch_execz .LBB7_23
; %bb.22:                               ;   in Loop: Header=BB7_7 Depth=1
	ds_read2_b32 v[1:2], v5 offset1:32
	s_waitcnt lgkmcnt(0)
	v_min_i32_e32 v1, v2, v1
	ds_write_b32 v5, v1
.LBB7_23:                               ;   in Loop: Header=BB7_7 Depth=1
	s_or_b32 exec_lo, exec_lo, s11
	s_waitcnt lgkmcnt(0)
	s_barrier
	buffer_gl0_inv
	s_and_saveexec_b32 s11, s7
	s_cbranch_execz .LBB7_25
; %bb.24:                               ;   in Loop: Header=BB7_7 Depth=1
	ds_read2_b32 v[1:2], v5 offset1:16
	s_waitcnt lgkmcnt(0)
	v_min_i32_e32 v1, v2, v1
	ds_write_b32 v5, v1
.LBB7_25:                               ;   in Loop: Header=BB7_7 Depth=1
	;; [unrolled: 12-line block ×5, first 2 shown]
	s_or_b32 exec_lo, exec_lo, s11
	s_waitcnt lgkmcnt(0)
	s_barrier
	buffer_gl0_inv
	s_and_saveexec_b32 s11, s0
	s_cbranch_execz .LBB7_6
; %bb.32:                               ;   in Loop: Header=BB7_7 Depth=1
	ds_read_b64 v[1:2], v6
	s_waitcnt lgkmcnt(0)
	v_min_i32_e32 v1, v2, v1
	ds_write_b32 v6, v1
	s_branch .LBB7_6
.LBB7_33:
	s_mov_b32 s0, exec_lo
	v_cmpx_eq_u32_e32 0, v0
	s_cbranch_execz .LBB7_35
; %bb.34:
	s_clause 0x1
	s_load_dword s2, s[4:5], 0x28
	s_load_dwordx2 s[0:1], s[4:5], 0x30
	v_mov_b32_e32 v0, 0
	s_ashr_i32 s7, s6, 31
	ds_read_b32 v1, v0 offset:1024
	s_waitcnt lgkmcnt(0)
	v_mov_b32_e32 v2, s2
	s_lshl_b64 s[2:3], s[6:7], 2
	s_add_u32 s2, s0, s2
	s_addc_u32 s3, s1, s3
	global_store_dword v0, v2, s[0:1]
	global_store_dword v0, v1, s[2:3] offset:4
.LBB7_35:
	s_endpgm
	.section	.rodata,"a",@progbits
	.p2align	6, 0x0
	.amdhsa_kernel _ZN9rocsparseL42csr2bsr_nnz_block_per_row_multipass_kernelILj256ELj32EiiEEvT2_S1_S1_S1_S1_21rocsparse_index_base_PKT1_PKS1_S2_PS3_
		.amdhsa_group_segment_fixed_size 1032
		.amdhsa_private_segment_fixed_size 0
		.amdhsa_kernarg_size 56
		.amdhsa_user_sgpr_count 6
		.amdhsa_user_sgpr_private_segment_buffer 1
		.amdhsa_user_sgpr_dispatch_ptr 0
		.amdhsa_user_sgpr_queue_ptr 0
		.amdhsa_user_sgpr_kernarg_segment_ptr 1
		.amdhsa_user_sgpr_dispatch_id 0
		.amdhsa_user_sgpr_flat_scratch_init 0
		.amdhsa_user_sgpr_private_segment_size 0
		.amdhsa_wavefront_size32 1
		.amdhsa_uses_dynamic_stack 0
		.amdhsa_system_sgpr_private_segment_wavefront_offset 0
		.amdhsa_system_sgpr_workgroup_id_x 1
		.amdhsa_system_sgpr_workgroup_id_y 0
		.amdhsa_system_sgpr_workgroup_id_z 0
		.amdhsa_system_sgpr_workgroup_info 0
		.amdhsa_system_vgpr_workitem_id 0
		.amdhsa_next_free_vgpr 20
		.amdhsa_next_free_sgpr 21
		.amdhsa_reserve_vcc 1
		.amdhsa_reserve_flat_scratch 0
		.amdhsa_float_round_mode_32 0
		.amdhsa_float_round_mode_16_64 0
		.amdhsa_float_denorm_mode_32 3
		.amdhsa_float_denorm_mode_16_64 3
		.amdhsa_dx10_clamp 1
		.amdhsa_ieee_mode 1
		.amdhsa_fp16_overflow 0
		.amdhsa_workgroup_processor_mode 1
		.amdhsa_memory_ordered 1
		.amdhsa_forward_progress 1
		.amdhsa_shared_vgpr_count 0
		.amdhsa_exception_fp_ieee_invalid_op 0
		.amdhsa_exception_fp_denorm_src 0
		.amdhsa_exception_fp_ieee_div_zero 0
		.amdhsa_exception_fp_ieee_overflow 0
		.amdhsa_exception_fp_ieee_underflow 0
		.amdhsa_exception_fp_ieee_inexact 0
		.amdhsa_exception_int_div_zero 0
	.end_amdhsa_kernel
	.section	.text._ZN9rocsparseL42csr2bsr_nnz_block_per_row_multipass_kernelILj256ELj32EiiEEvT2_S1_S1_S1_S1_21rocsparse_index_base_PKT1_PKS1_S2_PS3_,"axG",@progbits,_ZN9rocsparseL42csr2bsr_nnz_block_per_row_multipass_kernelILj256ELj32EiiEEvT2_S1_S1_S1_S1_21rocsparse_index_base_PKT1_PKS1_S2_PS3_,comdat
.Lfunc_end7:
	.size	_ZN9rocsparseL42csr2bsr_nnz_block_per_row_multipass_kernelILj256ELj32EiiEEvT2_S1_S1_S1_S1_21rocsparse_index_base_PKT1_PKS1_S2_PS3_, .Lfunc_end7-_ZN9rocsparseL42csr2bsr_nnz_block_per_row_multipass_kernelILj256ELj32EiiEEvT2_S1_S1_S1_S1_21rocsparse_index_base_PKT1_PKS1_S2_PS3_
                                        ; -- End function
	.set _ZN9rocsparseL42csr2bsr_nnz_block_per_row_multipass_kernelILj256ELj32EiiEEvT2_S1_S1_S1_S1_21rocsparse_index_base_PKT1_PKS1_S2_PS3_.num_vgpr, 20
	.set _ZN9rocsparseL42csr2bsr_nnz_block_per_row_multipass_kernelILj256ELj32EiiEEvT2_S1_S1_S1_S1_21rocsparse_index_base_PKT1_PKS1_S2_PS3_.num_agpr, 0
	.set _ZN9rocsparseL42csr2bsr_nnz_block_per_row_multipass_kernelILj256ELj32EiiEEvT2_S1_S1_S1_S1_21rocsparse_index_base_PKT1_PKS1_S2_PS3_.numbered_sgpr, 21
	.set _ZN9rocsparseL42csr2bsr_nnz_block_per_row_multipass_kernelILj256ELj32EiiEEvT2_S1_S1_S1_S1_21rocsparse_index_base_PKT1_PKS1_S2_PS3_.num_named_barrier, 0
	.set _ZN9rocsparseL42csr2bsr_nnz_block_per_row_multipass_kernelILj256ELj32EiiEEvT2_S1_S1_S1_S1_21rocsparse_index_base_PKT1_PKS1_S2_PS3_.private_seg_size, 0
	.set _ZN9rocsparseL42csr2bsr_nnz_block_per_row_multipass_kernelILj256ELj32EiiEEvT2_S1_S1_S1_S1_21rocsparse_index_base_PKT1_PKS1_S2_PS3_.uses_vcc, 1
	.set _ZN9rocsparseL42csr2bsr_nnz_block_per_row_multipass_kernelILj256ELj32EiiEEvT2_S1_S1_S1_S1_21rocsparse_index_base_PKT1_PKS1_S2_PS3_.uses_flat_scratch, 0
	.set _ZN9rocsparseL42csr2bsr_nnz_block_per_row_multipass_kernelILj256ELj32EiiEEvT2_S1_S1_S1_S1_21rocsparse_index_base_PKT1_PKS1_S2_PS3_.has_dyn_sized_stack, 0
	.set _ZN9rocsparseL42csr2bsr_nnz_block_per_row_multipass_kernelILj256ELj32EiiEEvT2_S1_S1_S1_S1_21rocsparse_index_base_PKT1_PKS1_S2_PS3_.has_recursion, 0
	.set _ZN9rocsparseL42csr2bsr_nnz_block_per_row_multipass_kernelILj256ELj32EiiEEvT2_S1_S1_S1_S1_21rocsparse_index_base_PKT1_PKS1_S2_PS3_.has_indirect_call, 0
	.section	.AMDGPU.csdata,"",@progbits
; Kernel info:
; codeLenInByte = 1452
; TotalNumSgprs: 23
; NumVgprs: 20
; ScratchSize: 0
; MemoryBound: 0
; FloatMode: 240
; IeeeMode: 1
; LDSByteSize: 1032 bytes/workgroup (compile time only)
; SGPRBlocks: 0
; VGPRBlocks: 2
; NumSGPRsForWavesPerEU: 23
; NumVGPRsForWavesPerEU: 20
; Occupancy: 16
; WaveLimiterHint : 0
; COMPUTE_PGM_RSRC2:SCRATCH_EN: 0
; COMPUTE_PGM_RSRC2:USER_SGPR: 6
; COMPUTE_PGM_RSRC2:TRAP_HANDLER: 0
; COMPUTE_PGM_RSRC2:TGID_X_EN: 1
; COMPUTE_PGM_RSRC2:TGID_Y_EN: 0
; COMPUTE_PGM_RSRC2:TGID_Z_EN: 0
; COMPUTE_PGM_RSRC2:TIDIG_COMP_CNT: 0
	.section	.text._ZN9rocsparseL42csr2bsr_nnz_block_per_row_multipass_kernelILj256ELj64EiiEEvT2_S1_S1_S1_S1_21rocsparse_index_base_PKT1_PKS1_S2_PS3_,"axG",@progbits,_ZN9rocsparseL42csr2bsr_nnz_block_per_row_multipass_kernelILj256ELj64EiiEEvT2_S1_S1_S1_S1_21rocsparse_index_base_PKT1_PKS1_S2_PS3_,comdat
	.globl	_ZN9rocsparseL42csr2bsr_nnz_block_per_row_multipass_kernelILj256ELj64EiiEEvT2_S1_S1_S1_S1_21rocsparse_index_base_PKT1_PKS1_S2_PS3_ ; -- Begin function _ZN9rocsparseL42csr2bsr_nnz_block_per_row_multipass_kernelILj256ELj64EiiEEvT2_S1_S1_S1_S1_21rocsparse_index_base_PKT1_PKS1_S2_PS3_
	.p2align	8
	.type	_ZN9rocsparseL42csr2bsr_nnz_block_per_row_multipass_kernelILj256ELj64EiiEEvT2_S1_S1_S1_S1_21rocsparse_index_base_PKT1_PKS1_S2_PS3_,@function
_ZN9rocsparseL42csr2bsr_nnz_block_per_row_multipass_kernelILj256ELj64EiiEEvT2_S1_S1_S1_S1_21rocsparse_index_base_PKT1_PKS1_S2_PS3_: ; @_ZN9rocsparseL42csr2bsr_nnz_block_per_row_multipass_kernelILj256ELj64EiiEEvT2_S1_S1_S1_S1_21rocsparse_index_base_PKT1_PKS1_S2_PS3_
; %bb.0:
	s_clause 0x1
	s_load_dwordx4 s[12:15], s[4:5], 0xc
	s_load_dword s0, s[4:5], 0x0
	v_lshrrev_b32_e32 v4, 2, v0
	s_load_dwordx2 s[2:3], s[4:5], 0x18
	v_mov_b32_e32 v3, 0
	v_mov_b32_e32 v12, 0
	ds_write_b32 v3, v3 offset:1024
	s_waitcnt lgkmcnt(0)
	s_barrier
	buffer_gl0_inv
	v_mad_u64_u32 v[1:2], null, s13, s6, v[4:5]
	v_cmp_gt_i32_e32 vcc_lo, s0, v1
	v_cmp_gt_i32_e64 s0, s13, v4
	s_and_b32 s0, s0, vcc_lo
	s_and_saveexec_b32 s1, s0
	s_cbranch_execnz .LBB8_3
; %bb.1:
	s_or_b32 exec_lo, exec_lo, s1
	s_and_saveexec_b32 s1, s0
	s_cbranch_execnz .LBB8_4
.LBB8_2:
	s_or_b32 exec_lo, exec_lo, s1
	v_cmp_eq_u32_e64 s0, 0, v0
	s_cmp_lt_i32 s12, 1
	s_cbranch_scc0 .LBB8_5
	s_branch .LBB8_33
.LBB8_3:
	v_ashrrev_i32_e32 v2, 31, v1
	v_lshlrev_b64 v[4:5], 2, v[1:2]
	v_add_co_u32 v4, vcc_lo, s2, v4
	v_add_co_ci_u32_e64 v5, null, s3, v5, vcc_lo
	global_load_dword v2, v[4:5], off
	s_waitcnt vmcnt(0)
	v_subrev_nc_u32_e32 v12, s14, v2
	s_or_b32 exec_lo, exec_lo, s1
	s_and_saveexec_b32 s1, s0
	s_cbranch_execz .LBB8_2
.LBB8_4:
	v_ashrrev_i32_e32 v2, 31, v1
	v_lshlrev_b64 v[1:2], 2, v[1:2]
	v_add_co_u32 v1, vcc_lo, s2, v1
	v_add_co_ci_u32_e64 v2, null, s3, v2, vcc_lo
	global_load_dword v1, v[1:2], off offset:4
	s_waitcnt vmcnt(0)
	v_subrev_nc_u32_e32 v3, s14, v1
	s_or_b32 exec_lo, exec_lo, s1
	v_cmp_eq_u32_e64 s0, 0, v0
	s_cmp_lt_i32 s12, 1
	s_cbranch_scc1 .LBB8_33
.LBB8_5:
	s_abs_i32 s15, s13
	v_mbcnt_lo_u32_b32 v2, -1, 0
	v_cvt_f32_u32_e32 v1, s15
	s_sub_i32 s8, 0, s15
	s_load_dwordx2 s[16:17], s[4:5], 0x20
	v_and_b32_e32 v4, 3, v0
	v_xor_b32_e32 v7, 2, v2
	v_rcp_iflag_f32_e32 v1, v1
	v_xor_b32_e32 v8, 1, v2
	v_lshlrev_b32_e32 v5, 2, v0
	v_cmp_gt_u32_e64 s1, 0x80, v0
	v_cmp_gt_i32_e32 vcc_lo, 32, v7
	v_cmp_gt_u32_e64 s2, 64, v0
	v_cmp_gt_u32_e64 s3, 32, v0
	;; [unrolled: 1-line block ×4, first 2 shown]
	v_cndmask_b32_e32 v9, v2, v7, vcc_lo
	v_mul_f32_e32 v1, 0x4f7ffffe, v1
	v_cmp_gt_i32_e32 vcc_lo, 32, v8
	v_cmp_gt_u32_e64 s10, 2, v0
	v_mov_b32_e32 v7, 1
	v_lshlrev_b32_e32 v9, 2, v9
	v_cvt_u32_f32_e32 v1, v1
	v_cndmask_b32_e32 v10, v2, v8, vcc_lo
	v_lshl_or_b32 v8, v2, 2, 12
	v_mov_b32_e32 v14, 0
	s_ashr_i32 s13, s13, 31
	v_mul_lo_u32 v6, s8, v1
	v_cmp_gt_u32_e64 s8, 8, v0
	v_lshlrev_b32_e32 v10, 2, v10
	v_mul_hi_u32 v11, v1, v6
	v_mov_b32_e32 v6, 0
	v_add_nc_u32_e32 v11, v1, v11
	s_branch .LBB8_7
.LBB8_6:                                ;   in Loop: Header=BB8_7 Depth=1
	s_or_b32 exec_lo, exec_lo, s11
	s_waitcnt lgkmcnt(0)
	s_barrier
	buffer_gl0_inv
	ds_read_b32 v14, v6
	s_waitcnt lgkmcnt(0)
	s_barrier
	buffer_gl0_inv
	v_cmp_gt_i32_e32 vcc_lo, s12, v14
	s_cbranch_vccz .LBB8_33
.LBB8_7:                                ; =>This Loop Header: Depth=1
                                        ;     Child Loop BB8_10 Depth 2
	v_add_nc_u32_e32 v1, v12, v4
	v_mov_b32_e32 v13, s12
	v_mov_b32_e32 v12, v3
	s_mov_b32 s18, exec_lo
	ds_write_b8 v6, v6 offset:1028
	s_waitcnt lgkmcnt(0)
	s_barrier
	buffer_gl0_inv
	v_cmpx_lt_i32_e64 v1, v3
	s_cbranch_execz .LBB8_15
; %bb.8:                                ;   in Loop: Header=BB8_7 Depth=1
	v_mov_b32_e32 v13, s12
	v_mov_b32_e32 v12, v3
	s_mov_b32 s19, 0
	s_branch .LBB8_10
.LBB8_9:                                ;   in Loop: Header=BB8_10 Depth=2
	s_or_b32 exec_lo, exec_lo, s11
	v_add_nc_u32_e32 v1, 4, v1
	s_xor_b32 s20, vcc_lo, -1
	v_cmp_ge_i32_e64 s11, v1, v3
	s_or_b32 s11, s20, s11
	s_and_b32 s11, exec_lo, s11
	s_or_b32 s19, s11, s19
	s_andn2_b32 exec_lo, exec_lo, s19
	s_cbranch_execz .LBB8_14
.LBB8_10:                               ;   Parent Loop BB8_7 Depth=1
                                        ; =>  This Inner Loop Header: Depth=2
	v_ashrrev_i32_e32 v2, 31, v1
	v_lshlrev_b64 v[15:16], 2, v[1:2]
	v_add_co_u32 v15, vcc_lo, s16, v15
	v_add_co_ci_u32_e64 v16, null, s17, v16, vcc_lo
	global_load_dword v2, v[15:16], off
	s_waitcnt vmcnt(0)
	v_subrev_nc_u32_e32 v2, s14, v2
	v_sub_nc_u32_e32 v15, 0, v2
	v_max_i32_e32 v15, v2, v15
	v_ashrrev_i32_e32 v2, 31, v2
	v_mul_hi_u32 v16, v15, v11
	v_xor_b32_e32 v2, s13, v2
	v_mul_lo_u32 v17, v16, s15
	v_sub_nc_u32_e32 v15, v15, v17
	v_add_nc_u32_e32 v17, 1, v16
	v_subrev_nc_u32_e32 v18, s15, v15
	v_cmp_le_u32_e32 vcc_lo, s15, v15
	v_cndmask_b32_e32 v16, v16, v17, vcc_lo
	v_cndmask_b32_e32 v15, v15, v18, vcc_lo
	v_add_nc_u32_e32 v17, 1, v16
	v_cmp_le_u32_e32 vcc_lo, s15, v15
	v_cndmask_b32_e32 v15, v16, v17, vcc_lo
	v_xor_b32_e32 v15, v15, v2
	v_sub_nc_u32_e32 v15, v15, v2
	v_mov_b32_e32 v2, v12
	v_cmp_ne_u32_e64 s11, v15, v14
	v_cmp_eq_u32_e32 vcc_lo, v15, v14
	s_and_saveexec_b32 s20, s11
	s_xor_b32 s11, exec_lo, s20
; %bb.11:                               ;   in Loop: Header=BB8_10 Depth=2
	v_min_i32_e32 v13, v15, v13
                                        ; implicit-def: $vgpr2
; %bb.12:                               ;   in Loop: Header=BB8_10 Depth=2
	s_or_saveexec_b32 s11, s11
	v_mov_b32_e32 v12, v1
	s_xor_b32 exec_lo, exec_lo, s11
	s_cbranch_execz .LBB8_9
; %bb.13:                               ;   in Loop: Header=BB8_10 Depth=2
	v_mov_b32_e32 v12, v2
	ds_write_b8 v6, v7 offset:1028
	s_branch .LBB8_9
.LBB8_14:                               ;   in Loop: Header=BB8_7 Depth=1
	s_or_b32 exec_lo, exec_lo, s19
.LBB8_15:                               ;   in Loop: Header=BB8_7 Depth=1
	s_or_b32 exec_lo, exec_lo, s18
	ds_bpermute_b32 v1, v9, v12
	s_waitcnt lgkmcnt(0)
	s_barrier
	buffer_gl0_inv
	ds_read_u8 v14, v6 offset:1028
	v_min_i32_e32 v1, v1, v12
	s_waitcnt lgkmcnt(0)
	v_readfirstlane_b32 s11, v14
	ds_bpermute_b32 v2, v10, v1
	s_bitcmp1_b32 s11, 0
	s_cselect_b32 s11, -1, 0
	s_and_b32 s18, s0, s11
	s_waitcnt lgkmcnt(0)
	v_min_i32_e32 v1, v2, v1
	ds_bpermute_b32 v12, v8, v1
	s_and_saveexec_b32 s11, s18
	s_cbranch_execz .LBB8_17
; %bb.16:                               ;   in Loop: Header=BB8_7 Depth=1
	ds_read_b32 v1, v6 offset:1024
	s_waitcnt lgkmcnt(0)
	v_add_nc_u32_e32 v1, 1, v1
	ds_write_b32 v6, v1 offset:1024
.LBB8_17:                               ;   in Loop: Header=BB8_7 Depth=1
	s_or_b32 exec_lo, exec_lo, s11
	ds_write_b32 v5, v13
	s_waitcnt lgkmcnt(0)
	s_barrier
	buffer_gl0_inv
	s_and_saveexec_b32 s11, s1
	s_cbranch_execz .LBB8_19
; %bb.18:                               ;   in Loop: Header=BB8_7 Depth=1
	ds_read2st64_b32 v[1:2], v5 offset1:2
	s_waitcnt lgkmcnt(0)
	v_min_i32_e32 v1, v2, v1
	ds_write_b32 v5, v1
.LBB8_19:                               ;   in Loop: Header=BB8_7 Depth=1
	s_or_b32 exec_lo, exec_lo, s11
	s_waitcnt lgkmcnt(0)
	s_barrier
	buffer_gl0_inv
	s_and_saveexec_b32 s11, s2
	s_cbranch_execz .LBB8_21
; %bb.20:                               ;   in Loop: Header=BB8_7 Depth=1
	ds_read2st64_b32 v[1:2], v5 offset1:1
	s_waitcnt lgkmcnt(0)
	v_min_i32_e32 v1, v2, v1
	ds_write_b32 v5, v1
.LBB8_21:                               ;   in Loop: Header=BB8_7 Depth=1
	s_or_b32 exec_lo, exec_lo, s11
	s_waitcnt lgkmcnt(0)
	s_barrier
	buffer_gl0_inv
	s_and_saveexec_b32 s11, s3
	s_cbranch_execz .LBB8_23
; %bb.22:                               ;   in Loop: Header=BB8_7 Depth=1
	ds_read2_b32 v[1:2], v5 offset1:32
	s_waitcnt lgkmcnt(0)
	v_min_i32_e32 v1, v2, v1
	ds_write_b32 v5, v1
.LBB8_23:                               ;   in Loop: Header=BB8_7 Depth=1
	s_or_b32 exec_lo, exec_lo, s11
	s_waitcnt lgkmcnt(0)
	s_barrier
	buffer_gl0_inv
	s_and_saveexec_b32 s11, s7
	s_cbranch_execz .LBB8_25
; %bb.24:                               ;   in Loop: Header=BB8_7 Depth=1
	ds_read2_b32 v[1:2], v5 offset1:16
	s_waitcnt lgkmcnt(0)
	v_min_i32_e32 v1, v2, v1
	ds_write_b32 v5, v1
.LBB8_25:                               ;   in Loop: Header=BB8_7 Depth=1
	;; [unrolled: 12-line block ×5, first 2 shown]
	s_or_b32 exec_lo, exec_lo, s11
	s_waitcnt lgkmcnt(0)
	s_barrier
	buffer_gl0_inv
	s_and_saveexec_b32 s11, s0
	s_cbranch_execz .LBB8_6
; %bb.32:                               ;   in Loop: Header=BB8_7 Depth=1
	ds_read_b64 v[1:2], v6
	s_waitcnt lgkmcnt(0)
	v_min_i32_e32 v1, v2, v1
	ds_write_b32 v6, v1
	s_branch .LBB8_6
.LBB8_33:
	s_mov_b32 s0, exec_lo
	v_cmpx_eq_u32_e32 0, v0
	s_cbranch_execz .LBB8_35
; %bb.34:
	s_clause 0x1
	s_load_dword s2, s[4:5], 0x28
	s_load_dwordx2 s[0:1], s[4:5], 0x30
	v_mov_b32_e32 v0, 0
	s_ashr_i32 s7, s6, 31
	ds_read_b32 v1, v0 offset:1024
	s_waitcnt lgkmcnt(0)
	v_mov_b32_e32 v2, s2
	s_lshl_b64 s[2:3], s[6:7], 2
	s_add_u32 s2, s0, s2
	s_addc_u32 s3, s1, s3
	global_store_dword v0, v2, s[0:1]
	global_store_dword v0, v1, s[2:3] offset:4
.LBB8_35:
	s_endpgm
	.section	.rodata,"a",@progbits
	.p2align	6, 0x0
	.amdhsa_kernel _ZN9rocsparseL42csr2bsr_nnz_block_per_row_multipass_kernelILj256ELj64EiiEEvT2_S1_S1_S1_S1_21rocsparse_index_base_PKT1_PKS1_S2_PS3_
		.amdhsa_group_segment_fixed_size 1032
		.amdhsa_private_segment_fixed_size 0
		.amdhsa_kernarg_size 56
		.amdhsa_user_sgpr_count 6
		.amdhsa_user_sgpr_private_segment_buffer 1
		.amdhsa_user_sgpr_dispatch_ptr 0
		.amdhsa_user_sgpr_queue_ptr 0
		.amdhsa_user_sgpr_kernarg_segment_ptr 1
		.amdhsa_user_sgpr_dispatch_id 0
		.amdhsa_user_sgpr_flat_scratch_init 0
		.amdhsa_user_sgpr_private_segment_size 0
		.amdhsa_wavefront_size32 1
		.amdhsa_uses_dynamic_stack 0
		.amdhsa_system_sgpr_private_segment_wavefront_offset 0
		.amdhsa_system_sgpr_workgroup_id_x 1
		.amdhsa_system_sgpr_workgroup_id_y 0
		.amdhsa_system_sgpr_workgroup_id_z 0
		.amdhsa_system_sgpr_workgroup_info 0
		.amdhsa_system_vgpr_workitem_id 0
		.amdhsa_next_free_vgpr 19
		.amdhsa_next_free_sgpr 21
		.amdhsa_reserve_vcc 1
		.amdhsa_reserve_flat_scratch 0
		.amdhsa_float_round_mode_32 0
		.amdhsa_float_round_mode_16_64 0
		.amdhsa_float_denorm_mode_32 3
		.amdhsa_float_denorm_mode_16_64 3
		.amdhsa_dx10_clamp 1
		.amdhsa_ieee_mode 1
		.amdhsa_fp16_overflow 0
		.amdhsa_workgroup_processor_mode 1
		.amdhsa_memory_ordered 1
		.amdhsa_forward_progress 1
		.amdhsa_shared_vgpr_count 0
		.amdhsa_exception_fp_ieee_invalid_op 0
		.amdhsa_exception_fp_denorm_src 0
		.amdhsa_exception_fp_ieee_div_zero 0
		.amdhsa_exception_fp_ieee_overflow 0
		.amdhsa_exception_fp_ieee_underflow 0
		.amdhsa_exception_fp_ieee_inexact 0
		.amdhsa_exception_int_div_zero 0
	.end_amdhsa_kernel
	.section	.text._ZN9rocsparseL42csr2bsr_nnz_block_per_row_multipass_kernelILj256ELj64EiiEEvT2_S1_S1_S1_S1_21rocsparse_index_base_PKT1_PKS1_S2_PS3_,"axG",@progbits,_ZN9rocsparseL42csr2bsr_nnz_block_per_row_multipass_kernelILj256ELj64EiiEEvT2_S1_S1_S1_S1_21rocsparse_index_base_PKT1_PKS1_S2_PS3_,comdat
.Lfunc_end8:
	.size	_ZN9rocsparseL42csr2bsr_nnz_block_per_row_multipass_kernelILj256ELj64EiiEEvT2_S1_S1_S1_S1_21rocsparse_index_base_PKT1_PKS1_S2_PS3_, .Lfunc_end8-_ZN9rocsparseL42csr2bsr_nnz_block_per_row_multipass_kernelILj256ELj64EiiEEvT2_S1_S1_S1_S1_21rocsparse_index_base_PKT1_PKS1_S2_PS3_
                                        ; -- End function
	.set _ZN9rocsparseL42csr2bsr_nnz_block_per_row_multipass_kernelILj256ELj64EiiEEvT2_S1_S1_S1_S1_21rocsparse_index_base_PKT1_PKS1_S2_PS3_.num_vgpr, 19
	.set _ZN9rocsparseL42csr2bsr_nnz_block_per_row_multipass_kernelILj256ELj64EiiEEvT2_S1_S1_S1_S1_21rocsparse_index_base_PKT1_PKS1_S2_PS3_.num_agpr, 0
	.set _ZN9rocsparseL42csr2bsr_nnz_block_per_row_multipass_kernelILj256ELj64EiiEEvT2_S1_S1_S1_S1_21rocsparse_index_base_PKT1_PKS1_S2_PS3_.numbered_sgpr, 21
	.set _ZN9rocsparseL42csr2bsr_nnz_block_per_row_multipass_kernelILj256ELj64EiiEEvT2_S1_S1_S1_S1_21rocsparse_index_base_PKT1_PKS1_S2_PS3_.num_named_barrier, 0
	.set _ZN9rocsparseL42csr2bsr_nnz_block_per_row_multipass_kernelILj256ELj64EiiEEvT2_S1_S1_S1_S1_21rocsparse_index_base_PKT1_PKS1_S2_PS3_.private_seg_size, 0
	.set _ZN9rocsparseL42csr2bsr_nnz_block_per_row_multipass_kernelILj256ELj64EiiEEvT2_S1_S1_S1_S1_21rocsparse_index_base_PKT1_PKS1_S2_PS3_.uses_vcc, 1
	.set _ZN9rocsparseL42csr2bsr_nnz_block_per_row_multipass_kernelILj256ELj64EiiEEvT2_S1_S1_S1_S1_21rocsparse_index_base_PKT1_PKS1_S2_PS3_.uses_flat_scratch, 0
	.set _ZN9rocsparseL42csr2bsr_nnz_block_per_row_multipass_kernelILj256ELj64EiiEEvT2_S1_S1_S1_S1_21rocsparse_index_base_PKT1_PKS1_S2_PS3_.has_dyn_sized_stack, 0
	.set _ZN9rocsparseL42csr2bsr_nnz_block_per_row_multipass_kernelILj256ELj64EiiEEvT2_S1_S1_S1_S1_21rocsparse_index_base_PKT1_PKS1_S2_PS3_.has_recursion, 0
	.set _ZN9rocsparseL42csr2bsr_nnz_block_per_row_multipass_kernelILj256ELj64EiiEEvT2_S1_S1_S1_S1_21rocsparse_index_base_PKT1_PKS1_S2_PS3_.has_indirect_call, 0
	.section	.AMDGPU.csdata,"",@progbits
; Kernel info:
; codeLenInByte = 1420
; TotalNumSgprs: 23
; NumVgprs: 19
; ScratchSize: 0
; MemoryBound: 0
; FloatMode: 240
; IeeeMode: 1
; LDSByteSize: 1032 bytes/workgroup (compile time only)
; SGPRBlocks: 0
; VGPRBlocks: 2
; NumSGPRsForWavesPerEU: 23
; NumVGPRsForWavesPerEU: 19
; Occupancy: 16
; WaveLimiterHint : 0
; COMPUTE_PGM_RSRC2:SCRATCH_EN: 0
; COMPUTE_PGM_RSRC2:USER_SGPR: 6
; COMPUTE_PGM_RSRC2:TRAP_HANDLER: 0
; COMPUTE_PGM_RSRC2:TGID_X_EN: 1
; COMPUTE_PGM_RSRC2:TGID_Y_EN: 0
; COMPUTE_PGM_RSRC2:TGID_Z_EN: 0
; COMPUTE_PGM_RSRC2:TIDIG_COMP_CNT: 0
	.section	.text._ZN9rocsparseL25csr2bsr_nnz_65_inf_kernelILj32EiiEEvT1_S1_S1_S1_S1_S1_21rocsparse_index_base_PKT0_PKS1_S2_PS3_S8_,"axG",@progbits,_ZN9rocsparseL25csr2bsr_nnz_65_inf_kernelILj32EiiEEvT1_S1_S1_S1_S1_S1_21rocsparse_index_base_PKT0_PKS1_S2_PS3_S8_,comdat
	.globl	_ZN9rocsparseL25csr2bsr_nnz_65_inf_kernelILj32EiiEEvT1_S1_S1_S1_S1_S1_21rocsparse_index_base_PKT0_PKS1_S2_PS3_S8_ ; -- Begin function _ZN9rocsparseL25csr2bsr_nnz_65_inf_kernelILj32EiiEEvT1_S1_S1_S1_S1_S1_21rocsparse_index_base_PKT0_PKS1_S2_PS3_S8_
	.p2align	8
	.type	_ZN9rocsparseL25csr2bsr_nnz_65_inf_kernelILj32EiiEEvT1_S1_S1_S1_S1_S1_21rocsparse_index_base_PKT0_PKS1_S2_PS3_S8_,@function
_ZN9rocsparseL25csr2bsr_nnz_65_inf_kernelILj32EiiEEvT1_S1_S1_S1_S1_S1_21rocsparse_index_base_PKT0_PKS1_S2_PS3_S8_: ; @_ZN9rocsparseL25csr2bsr_nnz_65_inf_kernelILj32EiiEEvT1_S1_S1_S1_S1_S1_21rocsparse_index_base_PKT0_PKS1_S2_PS3_S8_
; %bb.0:
	s_clause 0x2
	s_load_dwordx4 s[8:11], s[4:5], 0x8
	s_load_dwordx2 s[0:1], s[4:5], 0x40
	s_load_dword s7, s[4:5], 0x18
	s_mov_b32 s13, 0
	s_waitcnt lgkmcnt(0)
	v_mul_lo_u32 v1, s11, v0
	s_mul_i32 s2, s6, s11
	s_lshl_b32 s12, s2, 6
	s_lshl_b64 s[2:3], s[12:13], 2
	s_add_u32 s17, s0, s2
	v_ashrrev_i32_e32 v2, 31, v1
	s_addc_u32 s18, s1, s3
	s_lshl_b32 s12, s11, 5
	s_cmp_gt_i32 s11, 0
	s_cselect_b32 s16, -1, 0
	v_lshlrev_b64 v[3:4], 2, v[1:2]
	s_cmp_lt_i32 s11, 1
	v_add_co_u32 v1, vcc_lo, s17, v3
	v_add_co_ci_u32_e64 v2, null, s18, v4, vcc_lo
	s_cbranch_scc1 .LBB9_5
; %bb.1:
	s_clause 0x1
	s_load_dwordx2 s[2:3], s[4:5], 0x20
	s_load_dword s19, s[4:5], 0x0
	v_mov_b32_e32 v6, v2
	v_mov_b32_e32 v11, 0
	;; [unrolled: 1-line block ×4, first 2 shown]
	s_mul_i32 s20, s10, s6
	s_lshl_b64 s[14:15], s[12:13], 2
	s_mov_b32 s21, s11
	s_inst_prefetch 0x1
	s_branch .LBB9_3
	.p2align	6
.LBB9_2:                                ;   in Loop: Header=BB9_3 Depth=1
	s_or_b32 exec_lo, exec_lo, s0
	v_add_co_u32 v5, vcc_lo, v5, 4
	v_add_co_ci_u32_e64 v6, null, 0, v6, vcc_lo
	v_add_nc_u32_e32 v12, 32, v12
	s_add_i32 s21, s21, -1
	s_cmp_eq_u32 s21, 0
	s_cbranch_scc1 .LBB9_5
.LBB9_3:                                ; =>This Inner Loop Header: Depth=1
	v_add_nc_u32_e32 v9, s20, v12
	v_cmp_gt_u32_e32 vcc_lo, s10, v12
	v_add_co_u32 v7, s1, v5, s14
	v_add_co_ci_u32_e64 v8, null, s15, v6, s1
	s_waitcnt lgkmcnt(0)
	v_cmp_gt_i32_e64 s0, s19, v9
	global_store_dword v[5:6], v11, off
	global_store_dword v[7:8], v11, off
	s_and_b32 s1, vcc_lo, s0
	s_and_saveexec_b32 s0, s1
	s_cbranch_execz .LBB9_2
; %bb.4:                                ;   in Loop: Header=BB9_3 Depth=1
	v_ashrrev_i32_e32 v10, 31, v9
	v_lshlrev_b64 v[9:10], 2, v[9:10]
	v_add_co_u32 v9, vcc_lo, s2, v9
	v_add_co_ci_u32_e64 v10, null, s3, v10, vcc_lo
	global_load_dwordx2 v[9:10], v[9:10], off
	s_waitcnt vmcnt(0)
	v_subrev_nc_u32_e32 v9, s7, v9
	v_subrev_nc_u32_e32 v10, s7, v10
	global_store_dword v[5:6], v9, off
	global_store_dword v[7:8], v10, off
	s_branch .LBB9_2
.LBB9_5:
	s_inst_prefetch 0x2
	s_load_dwordx2 s[2:3], s[4:5], 0x38
	v_cmp_eq_u32_e64 s0, 31, v0
	s_cmp_lt_i32 s9, 1
	s_cbranch_scc1 .LBB9_20
; %bb.6:
	s_lshl_b64 s[12:13], s[12:13], 2
	v_mbcnt_lo_u32_b32 v6, -1, 0
	s_add_u32 s1, s17, s12
	s_addc_u32 s14, s18, s13
	s_abs_i32 s17, s10
	v_add_co_u32 v10, vcc_lo, s1, v3
	v_cvt_f32_u32_e32 v5, s17
	v_xor_b32_e32 v3, 16, v6
	v_add_co_ci_u32_e64 v11, null, s14, v4, vcc_lo
	v_xor_b32_e32 v4, 8, v6
	v_rcp_iflag_f32_e32 v5, v5
	v_cmp_gt_i32_e32 vcc_lo, 32, v3
	v_xor_b32_e32 v7, 4, v6
	v_xor_b32_e32 v9, 2, v6
	s_sub_i32 s1, 0, s17
	s_load_dwordx2 s[12:13], s[4:5], 0x28
	v_cndmask_b32_e32 v3, v6, v3, vcc_lo
	v_cmp_gt_i32_e32 vcc_lo, 32, v4
	v_xor_b32_e32 v13, 1, v6
	v_mov_b32_e32 v8, 0x7c
	v_mul_f32_e32 v5, 0x4f7ffffe, v5
	v_mov_b32_e32 v12, 0
	v_cndmask_b32_e32 v4, v6, v4, vcc_lo
	v_cmp_gt_i32_e32 vcc_lo, 32, v7
	s_mov_b32 s15, 0
	v_cvt_u32_f32_e32 v5, v5
	s_ashr_i32 s18, s10, 31
	s_mov_b32 s10, 0
	v_cndmask_b32_e32 v7, v6, v7, vcc_lo
	v_cmp_gt_i32_e32 vcc_lo, 32, v9
	v_mul_lo_u32 v14, s1, v5
	v_lshlrev_b32_e32 v15, 2, v7
	v_cndmask_b32_e32 v9, v6, v9, vcc_lo
	v_cmp_gt_i32_e32 vcc_lo, 32, v13
	v_mul_hi_u32 v18, v5, v14
	v_lshlrev_b32_e32 v14, 2, v4
	v_cndmask_b32_e32 v6, v6, v13, vcc_lo
	v_lshlrev_b32_e32 v13, 2, v3
	v_lshlrev_b32_e32 v16, 2, v9
	v_mov_b32_e32 v9, 0
	v_lshlrev_b32_e32 v17, 2, v6
	v_add_nc_u32_e32 v18, v5, v18
	s_branch .LBB9_8
.LBB9_7:                                ;   in Loop: Header=BB9_8 Depth=1
	ds_bpermute_b32 v3, v13, v19
	s_waitcnt lgkmcnt(0)
	v_min_i32_e32 v3, v3, v19
	ds_bpermute_b32 v4, v14, v3
	s_waitcnt lgkmcnt(0)
	v_min_i32_e32 v3, v4, v3
	;; [unrolled: 3-line block ×5, first 2 shown]
	ds_bpermute_b32 v3, v8, v3
	s_waitcnt lgkmcnt(0)
	v_cmp_gt_i32_e32 vcc_lo, s9, v3
	v_add_nc_u32_e32 v12, 1, v3
	s_and_b32 s1, s0, vcc_lo
	v_cmp_le_i32_e32 vcc_lo, s9, v12
	v_cndmask_b32_e64 v3, 0, 1, s1
	s_or_b32 s10, vcc_lo, s10
	v_add_nc_u32_e32 v9, v9, v3
	s_andn2_b32 exec_lo, exec_lo, s10
	s_cbranch_execz .LBB9_19
.LBB9_8:                                ; =>This Loop Header: Depth=1
                                        ;     Child Loop BB9_12 Depth 2
                                        ;       Child Loop BB9_15 Depth 3
	v_mov_b32_e32 v19, s9
	s_andn2_b32 vcc_lo, exec_lo, s16
	s_cbranch_vccnz .LBB9_7
; %bb.9:                                ;   in Loop: Header=BB9_8 Depth=1
	v_mov_b32_e32 v19, s9
	s_mov_b32 s14, 0
	s_branch .LBB9_12
.LBB9_10:                               ;   in Loop: Header=BB9_12 Depth=2
	s_or_b32 exec_lo, exec_lo, s1
.LBB9_11:                               ;   in Loop: Header=BB9_12 Depth=2
	s_or_b32 exec_lo, exec_lo, s19
	s_add_i32 s14, s14, 1
	s_cmp_eq_u32 s14, s11
	s_cbranch_scc1 .LBB9_7
.LBB9_12:                               ;   Parent Loop BB9_8 Depth=1
                                        ; =>  This Loop Header: Depth=2
                                        ;       Child Loop BB9_15 Depth 3
	s_lshl_b64 s[20:21], s[14:15], 2
	s_mov_b32 s19, exec_lo
	v_add_co_u32 v3, vcc_lo, v1, s20
	v_add_co_ci_u32_e64 v4, null, s21, v2, vcc_lo
	v_add_co_u32 v6, vcc_lo, v10, s20
	v_add_co_ci_u32_e64 v7, null, s21, v11, vcc_lo
	s_clause 0x1
	global_load_dword v5, v[3:4], off
	global_load_dword v20, v[6:7], off
	s_waitcnt vmcnt(0)
	v_cmpx_lt_i32_e64 v5, v20
	s_cbranch_execz .LBB9_11
; %bb.13:                               ;   in Loop: Header=BB9_12 Depth=2
	v_ashrrev_i32_e32 v6, 31, v5
	s_mov_b32 s20, 0
                                        ; implicit-def: $sgpr21
                                        ; implicit-def: $sgpr23
                                        ; implicit-def: $sgpr22
	v_lshlrev_b64 v[6:7], 2, v[5:6]
	s_waitcnt lgkmcnt(0)
	v_add_co_u32 v6, vcc_lo, s12, v6
	v_add_co_ci_u32_e64 v7, null, s13, v7, vcc_lo
	s_inst_prefetch 0x1
	s_branch .LBB9_15
	.p2align	6
.LBB9_14:                               ;   in Loop: Header=BB9_15 Depth=3
	s_or_b32 exec_lo, exec_lo, s24
	s_and_b32 s1, exec_lo, s23
	s_or_b32 s20, s1, s20
	s_andn2_b32 s1, s21, exec_lo
	s_and_b32 s21, s22, exec_lo
	s_or_b32 s21, s1, s21
	s_andn2_b32 exec_lo, exec_lo, s20
	s_cbranch_execz .LBB9_17
.LBB9_15:                               ;   Parent Loop BB9_8 Depth=1
                                        ;     Parent Loop BB9_12 Depth=2
                                        ; =>    This Inner Loop Header: Depth=3
	global_load_dword v21, v[6:7], off
	s_or_b32 s22, s22, exec_lo
	s_or_b32 s23, s23, exec_lo
	s_mov_b32 s24, exec_lo
	s_waitcnt vmcnt(0)
	v_subrev_nc_u32_e32 v21, s7, v21
	v_sub_nc_u32_e32 v22, 0, v21
	v_max_i32_e32 v22, v21, v22
	v_ashrrev_i32_e32 v21, 31, v21
	v_mul_hi_u32 v23, v22, v18
	v_xor_b32_e32 v21, s18, v21
	v_mul_lo_u32 v24, v23, s17
	v_sub_nc_u32_e32 v22, v22, v24
	v_add_nc_u32_e32 v24, 1, v23
	v_subrev_nc_u32_e32 v25, s17, v22
	v_cmp_le_u32_e32 vcc_lo, s17, v22
	v_cndmask_b32_e32 v23, v23, v24, vcc_lo
	v_cndmask_b32_e32 v22, v22, v25, vcc_lo
	v_add_nc_u32_e32 v24, 1, v23
	v_cmp_le_u32_e32 vcc_lo, s17, v22
	v_cndmask_b32_e32 v22, v23, v24, vcc_lo
	v_xor_b32_e32 v22, v22, v21
	v_sub_nc_u32_e32 v22, v22, v21
	v_mov_b32_e32 v21, v5
                                        ; implicit-def: $vgpr5
	v_cmpx_lt_i32_e64 v22, v12
	s_cbranch_execz .LBB9_14
; %bb.16:                               ;   in Loop: Header=BB9_15 Depth=3
	v_add_nc_u32_e32 v5, 1, v21
	v_add_co_u32 v6, s1, v6, 4
	v_add_co_ci_u32_e64 v7, null, 0, v7, s1
	v_cmp_ge_i32_e32 vcc_lo, v5, v20
	s_andn2_b32 s1, s23, exec_lo
	s_andn2_b32 s22, s22, exec_lo
	s_and_b32 s23, vcc_lo, exec_lo
	s_or_b32 s23, s1, s23
	s_branch .LBB9_14
.LBB9_17:                               ;   in Loop: Header=BB9_12 Depth=2
	s_inst_prefetch 0x2
	s_or_b32 exec_lo, exec_lo, s20
	s_and_saveexec_b32 s1, s21
	s_xor_b32 s1, exec_lo, s1
	s_cbranch_execz .LBB9_10
; %bb.18:                               ;   in Loop: Header=BB9_12 Depth=2
	v_min_i32_e32 v19, v22, v19
	global_store_dword v[3:4], v21, off
	s_branch .LBB9_10
.LBB9_19:
	s_or_b32 exec_lo, exec_lo, s10
	s_branch .LBB9_21
.LBB9_20:
	v_mov_b32_e32 v9, 0
.LBB9_21:
	v_cmp_eq_u32_e32 vcc_lo, 31, v0
	s_cmp_lt_i32 s6, s8
	s_cselect_b32 s0, -1, 0
	s_and_b32 s0, vcc_lo, s0
	s_and_saveexec_b32 s1, s0
	s_cbranch_execz .LBB9_23
; %bb.22:
	s_load_dword s0, s[4:5], 0x30
	s_ashr_i32 s7, s6, 31
	v_mov_b32_e32 v0, 0
	s_waitcnt lgkmcnt(0)
	v_mov_b32_e32 v1, s0
	s_lshl_b64 s[0:1], s[6:7], 2
	s_add_u32 s0, s2, s0
	s_addc_u32 s1, s3, s1
	global_store_dword v0, v1, s[2:3]
	global_store_dword v0, v9, s[0:1] offset:4
.LBB9_23:
	s_endpgm
	.section	.rodata,"a",@progbits
	.p2align	6, 0x0
	.amdhsa_kernel _ZN9rocsparseL25csr2bsr_nnz_65_inf_kernelILj32EiiEEvT1_S1_S1_S1_S1_S1_21rocsparse_index_base_PKT0_PKS1_S2_PS3_S8_
		.amdhsa_group_segment_fixed_size 0
		.amdhsa_private_segment_fixed_size 0
		.amdhsa_kernarg_size 72
		.amdhsa_user_sgpr_count 6
		.amdhsa_user_sgpr_private_segment_buffer 1
		.amdhsa_user_sgpr_dispatch_ptr 0
		.amdhsa_user_sgpr_queue_ptr 0
		.amdhsa_user_sgpr_kernarg_segment_ptr 1
		.amdhsa_user_sgpr_dispatch_id 0
		.amdhsa_user_sgpr_flat_scratch_init 0
		.amdhsa_user_sgpr_private_segment_size 0
		.amdhsa_wavefront_size32 1
		.amdhsa_uses_dynamic_stack 0
		.amdhsa_system_sgpr_private_segment_wavefront_offset 0
		.amdhsa_system_sgpr_workgroup_id_x 1
		.amdhsa_system_sgpr_workgroup_id_y 0
		.amdhsa_system_sgpr_workgroup_id_z 0
		.amdhsa_system_sgpr_workgroup_info 0
		.amdhsa_system_vgpr_workitem_id 0
		.amdhsa_next_free_vgpr 26
		.amdhsa_next_free_sgpr 25
		.amdhsa_reserve_vcc 1
		.amdhsa_reserve_flat_scratch 0
		.amdhsa_float_round_mode_32 0
		.amdhsa_float_round_mode_16_64 0
		.amdhsa_float_denorm_mode_32 3
		.amdhsa_float_denorm_mode_16_64 3
		.amdhsa_dx10_clamp 1
		.amdhsa_ieee_mode 1
		.amdhsa_fp16_overflow 0
		.amdhsa_workgroup_processor_mode 1
		.amdhsa_memory_ordered 1
		.amdhsa_forward_progress 1
		.amdhsa_shared_vgpr_count 0
		.amdhsa_exception_fp_ieee_invalid_op 0
		.amdhsa_exception_fp_denorm_src 0
		.amdhsa_exception_fp_ieee_div_zero 0
		.amdhsa_exception_fp_ieee_overflow 0
		.amdhsa_exception_fp_ieee_underflow 0
		.amdhsa_exception_fp_ieee_inexact 0
		.amdhsa_exception_int_div_zero 0
	.end_amdhsa_kernel
	.section	.text._ZN9rocsparseL25csr2bsr_nnz_65_inf_kernelILj32EiiEEvT1_S1_S1_S1_S1_S1_21rocsparse_index_base_PKT0_PKS1_S2_PS3_S8_,"axG",@progbits,_ZN9rocsparseL25csr2bsr_nnz_65_inf_kernelILj32EiiEEvT1_S1_S1_S1_S1_S1_21rocsparse_index_base_PKT0_PKS1_S2_PS3_S8_,comdat
.Lfunc_end9:
	.size	_ZN9rocsparseL25csr2bsr_nnz_65_inf_kernelILj32EiiEEvT1_S1_S1_S1_S1_S1_21rocsparse_index_base_PKT0_PKS1_S2_PS3_S8_, .Lfunc_end9-_ZN9rocsparseL25csr2bsr_nnz_65_inf_kernelILj32EiiEEvT1_S1_S1_S1_S1_S1_21rocsparse_index_base_PKT0_PKS1_S2_PS3_S8_
                                        ; -- End function
	.set _ZN9rocsparseL25csr2bsr_nnz_65_inf_kernelILj32EiiEEvT1_S1_S1_S1_S1_S1_21rocsparse_index_base_PKT0_PKS1_S2_PS3_S8_.num_vgpr, 26
	.set _ZN9rocsparseL25csr2bsr_nnz_65_inf_kernelILj32EiiEEvT1_S1_S1_S1_S1_S1_21rocsparse_index_base_PKT0_PKS1_S2_PS3_S8_.num_agpr, 0
	.set _ZN9rocsparseL25csr2bsr_nnz_65_inf_kernelILj32EiiEEvT1_S1_S1_S1_S1_S1_21rocsparse_index_base_PKT0_PKS1_S2_PS3_S8_.numbered_sgpr, 25
	.set _ZN9rocsparseL25csr2bsr_nnz_65_inf_kernelILj32EiiEEvT1_S1_S1_S1_S1_S1_21rocsparse_index_base_PKT0_PKS1_S2_PS3_S8_.num_named_barrier, 0
	.set _ZN9rocsparseL25csr2bsr_nnz_65_inf_kernelILj32EiiEEvT1_S1_S1_S1_S1_S1_21rocsparse_index_base_PKT0_PKS1_S2_PS3_S8_.private_seg_size, 0
	.set _ZN9rocsparseL25csr2bsr_nnz_65_inf_kernelILj32EiiEEvT1_S1_S1_S1_S1_S1_21rocsparse_index_base_PKT0_PKS1_S2_PS3_S8_.uses_vcc, 1
	.set _ZN9rocsparseL25csr2bsr_nnz_65_inf_kernelILj32EiiEEvT1_S1_S1_S1_S1_S1_21rocsparse_index_base_PKT0_PKS1_S2_PS3_S8_.uses_flat_scratch, 0
	.set _ZN9rocsparseL25csr2bsr_nnz_65_inf_kernelILj32EiiEEvT1_S1_S1_S1_S1_S1_21rocsparse_index_base_PKT0_PKS1_S2_PS3_S8_.has_dyn_sized_stack, 0
	.set _ZN9rocsparseL25csr2bsr_nnz_65_inf_kernelILj32EiiEEvT1_S1_S1_S1_S1_S1_21rocsparse_index_base_PKT0_PKS1_S2_PS3_S8_.has_recursion, 0
	.set _ZN9rocsparseL25csr2bsr_nnz_65_inf_kernelILj32EiiEEvT1_S1_S1_S1_S1_S1_21rocsparse_index_base_PKT0_PKS1_S2_PS3_S8_.has_indirect_call, 0
	.section	.AMDGPU.csdata,"",@progbits
; Kernel info:
; codeLenInByte = 1220
; TotalNumSgprs: 27
; NumVgprs: 26
; ScratchSize: 0
; MemoryBound: 0
; FloatMode: 240
; IeeeMode: 1
; LDSByteSize: 0 bytes/workgroup (compile time only)
; SGPRBlocks: 0
; VGPRBlocks: 3
; NumSGPRsForWavesPerEU: 27
; NumVGPRsForWavesPerEU: 26
; Occupancy: 16
; WaveLimiterHint : 0
; COMPUTE_PGM_RSRC2:SCRATCH_EN: 0
; COMPUTE_PGM_RSRC2:USER_SGPR: 6
; COMPUTE_PGM_RSRC2:TRAP_HANDLER: 0
; COMPUTE_PGM_RSRC2:TGID_X_EN: 1
; COMPUTE_PGM_RSRC2:TGID_Y_EN: 0
; COMPUTE_PGM_RSRC2:TGID_Z_EN: 0
; COMPUTE_PGM_RSRC2:TIDIG_COMP_CNT: 0
	.section	.text._ZN9rocsparseL36csr2bsr_nnz_compute_nnz_total_kernelILj1EiiEEvT1_PKT0_PS2_,"axG",@progbits,_ZN9rocsparseL36csr2bsr_nnz_compute_nnz_total_kernelILj1EiiEEvT1_PKT0_PS2_,comdat
	.globl	_ZN9rocsparseL36csr2bsr_nnz_compute_nnz_total_kernelILj1EiiEEvT1_PKT0_PS2_ ; -- Begin function _ZN9rocsparseL36csr2bsr_nnz_compute_nnz_total_kernelILj1EiiEEvT1_PKT0_PS2_
	.p2align	8
	.type	_ZN9rocsparseL36csr2bsr_nnz_compute_nnz_total_kernelILj1EiiEEvT1_PKT0_PS2_,@function
_ZN9rocsparseL36csr2bsr_nnz_compute_nnz_total_kernelILj1EiiEEvT1_PKT0_PS2_: ; @_ZN9rocsparseL36csr2bsr_nnz_compute_nnz_total_kernelILj1EiiEEvT1_PKT0_PS2_
; %bb.0:
	s_sub_i32 s0, 0, s6
	s_cmp_lg_u32 s0, 0
	s_cbranch_scc1 .LBB10_2
; %bb.1:
	s_clause 0x1
	s_load_dword s6, s[4:5], 0x0
	s_load_dwordx4 s[0:3], s[4:5], 0x8
	v_mov_b32_e32 v0, 0
	s_waitcnt lgkmcnt(0)
	s_ashr_i32 s7, s6, 31
	s_lshl_b64 s[4:5], s[6:7], 2
	s_add_u32 s4, s0, s4
	s_addc_u32 s5, s1, s5
	s_clause 0x1
	s_load_dword s4, s[4:5], 0x0
	s_load_dword s0, s[0:1], 0x0
	s_waitcnt lgkmcnt(0)
	s_sub_i32 s0, s4, s0
	v_mov_b32_e32 v1, s0
	global_store_dword v0, v1, s[2:3]
.LBB10_2:
	s_endpgm
	.section	.rodata,"a",@progbits
	.p2align	6, 0x0
	.amdhsa_kernel _ZN9rocsparseL36csr2bsr_nnz_compute_nnz_total_kernelILj1EiiEEvT1_PKT0_PS2_
		.amdhsa_group_segment_fixed_size 0
		.amdhsa_private_segment_fixed_size 0
		.amdhsa_kernarg_size 24
		.amdhsa_user_sgpr_count 6
		.amdhsa_user_sgpr_private_segment_buffer 1
		.amdhsa_user_sgpr_dispatch_ptr 0
		.amdhsa_user_sgpr_queue_ptr 0
		.amdhsa_user_sgpr_kernarg_segment_ptr 1
		.amdhsa_user_sgpr_dispatch_id 0
		.amdhsa_user_sgpr_flat_scratch_init 0
		.amdhsa_user_sgpr_private_segment_size 0
		.amdhsa_wavefront_size32 1
		.amdhsa_uses_dynamic_stack 0
		.amdhsa_system_sgpr_private_segment_wavefront_offset 0
		.amdhsa_system_sgpr_workgroup_id_x 1
		.amdhsa_system_sgpr_workgroup_id_y 0
		.amdhsa_system_sgpr_workgroup_id_z 0
		.amdhsa_system_sgpr_workgroup_info 0
		.amdhsa_system_vgpr_workitem_id 0
		.amdhsa_next_free_vgpr 2
		.amdhsa_next_free_sgpr 8
		.amdhsa_reserve_vcc 0
		.amdhsa_reserve_flat_scratch 0
		.amdhsa_float_round_mode_32 0
		.amdhsa_float_round_mode_16_64 0
		.amdhsa_float_denorm_mode_32 3
		.amdhsa_float_denorm_mode_16_64 3
		.amdhsa_dx10_clamp 1
		.amdhsa_ieee_mode 1
		.amdhsa_fp16_overflow 0
		.amdhsa_workgroup_processor_mode 1
		.amdhsa_memory_ordered 1
		.amdhsa_forward_progress 1
		.amdhsa_shared_vgpr_count 0
		.amdhsa_exception_fp_ieee_invalid_op 0
		.amdhsa_exception_fp_denorm_src 0
		.amdhsa_exception_fp_ieee_div_zero 0
		.amdhsa_exception_fp_ieee_overflow 0
		.amdhsa_exception_fp_ieee_underflow 0
		.amdhsa_exception_fp_ieee_inexact 0
		.amdhsa_exception_int_div_zero 0
	.end_amdhsa_kernel
	.section	.text._ZN9rocsparseL36csr2bsr_nnz_compute_nnz_total_kernelILj1EiiEEvT1_PKT0_PS2_,"axG",@progbits,_ZN9rocsparseL36csr2bsr_nnz_compute_nnz_total_kernelILj1EiiEEvT1_PKT0_PS2_,comdat
.Lfunc_end10:
	.size	_ZN9rocsparseL36csr2bsr_nnz_compute_nnz_total_kernelILj1EiiEEvT1_PKT0_PS2_, .Lfunc_end10-_ZN9rocsparseL36csr2bsr_nnz_compute_nnz_total_kernelILj1EiiEEvT1_PKT0_PS2_
                                        ; -- End function
	.set _ZN9rocsparseL36csr2bsr_nnz_compute_nnz_total_kernelILj1EiiEEvT1_PKT0_PS2_.num_vgpr, 2
	.set _ZN9rocsparseL36csr2bsr_nnz_compute_nnz_total_kernelILj1EiiEEvT1_PKT0_PS2_.num_agpr, 0
	.set _ZN9rocsparseL36csr2bsr_nnz_compute_nnz_total_kernelILj1EiiEEvT1_PKT0_PS2_.numbered_sgpr, 8
	.set _ZN9rocsparseL36csr2bsr_nnz_compute_nnz_total_kernelILj1EiiEEvT1_PKT0_PS2_.num_named_barrier, 0
	.set _ZN9rocsparseL36csr2bsr_nnz_compute_nnz_total_kernelILj1EiiEEvT1_PKT0_PS2_.private_seg_size, 0
	.set _ZN9rocsparseL36csr2bsr_nnz_compute_nnz_total_kernelILj1EiiEEvT1_PKT0_PS2_.uses_vcc, 0
	.set _ZN9rocsparseL36csr2bsr_nnz_compute_nnz_total_kernelILj1EiiEEvT1_PKT0_PS2_.uses_flat_scratch, 0
	.set _ZN9rocsparseL36csr2bsr_nnz_compute_nnz_total_kernelILj1EiiEEvT1_PKT0_PS2_.has_dyn_sized_stack, 0
	.set _ZN9rocsparseL36csr2bsr_nnz_compute_nnz_total_kernelILj1EiiEEvT1_PKT0_PS2_.has_recursion, 0
	.set _ZN9rocsparseL36csr2bsr_nnz_compute_nnz_total_kernelILj1EiiEEvT1_PKT0_PS2_.has_indirect_call, 0
	.section	.AMDGPU.csdata,"",@progbits
; Kernel info:
; codeLenInByte = 100
; TotalNumSgprs: 8
; NumVgprs: 2
; ScratchSize: 0
; MemoryBound: 0
; FloatMode: 240
; IeeeMode: 1
; LDSByteSize: 0 bytes/workgroup (compile time only)
; SGPRBlocks: 0
; VGPRBlocks: 0
; NumSGPRsForWavesPerEU: 8
; NumVGPRsForWavesPerEU: 2
; Occupancy: 16
; WaveLimiterHint : 0
; COMPUTE_PGM_RSRC2:SCRATCH_EN: 0
; COMPUTE_PGM_RSRC2:USER_SGPR: 6
; COMPUTE_PGM_RSRC2:TRAP_HANDLER: 0
; COMPUTE_PGM_RSRC2:TGID_X_EN: 1
; COMPUTE_PGM_RSRC2:TGID_Y_EN: 0
; COMPUTE_PGM_RSRC2:TGID_Z_EN: 0
; COMPUTE_PGM_RSRC2:TIDIG_COMP_CNT: 0
	.section	.text._ZN9rocsparseL39csr2bsr_nnz_block_dim_equals_one_kernelILj256EliEEvT1_21rocsparse_index_base_PKT0_S2_PS3_S6_,"axG",@progbits,_ZN9rocsparseL39csr2bsr_nnz_block_dim_equals_one_kernelILj256EliEEvT1_21rocsparse_index_base_PKT0_S2_PS3_S6_,comdat
	.globl	_ZN9rocsparseL39csr2bsr_nnz_block_dim_equals_one_kernelILj256EliEEvT1_21rocsparse_index_base_PKT0_S2_PS3_S6_ ; -- Begin function _ZN9rocsparseL39csr2bsr_nnz_block_dim_equals_one_kernelILj256EliEEvT1_21rocsparse_index_base_PKT0_S2_PS3_S6_
	.p2align	8
	.type	_ZN9rocsparseL39csr2bsr_nnz_block_dim_equals_one_kernelILj256EliEEvT1_21rocsparse_index_base_PKT0_S2_PS3_S6_,@function
_ZN9rocsparseL39csr2bsr_nnz_block_dim_equals_one_kernelILj256EliEEvT1_21rocsparse_index_base_PKT0_S2_PS3_S6_: ; @_ZN9rocsparseL39csr2bsr_nnz_block_dim_equals_one_kernelILj256EliEEvT1_21rocsparse_index_base_PKT0_S2_PS3_S6_
; %bb.0:
	s_clause 0x1
	s_load_dword s7, s[4:5], 0x34
	s_load_dwordx4 s[0:3], s[4:5], 0x0
	s_waitcnt lgkmcnt(0)
	s_and_b32 s7, s7, 0xffff
	v_mad_u64_u32 v[0:1], null, s6, s7, v[0:1]
	s_mov_b32 s6, exec_lo
	v_cmpx_ge_i32_e64 s0, v0
	s_cbranch_execz .LBB11_2
; %bb.1:
	v_ashrrev_i32_e32 v1, 31, v0
	v_lshlrev_b64 v[1:2], 3, v[0:1]
	v_add_co_u32 v3, vcc_lo, s2, v1
	v_add_co_ci_u32_e64 v4, null, s3, v2, vcc_lo
	global_load_dwordx2 v[3:4], v[3:4], off
	s_clause 0x1
	s_load_dwordx2 s[8:9], s[4:5], 0x18
	s_load_dword s7, s[4:5], 0x10
	s_waitcnt lgkmcnt(0)
	v_add_co_u32 v1, vcc_lo, s8, v1
	s_sub_u32 s1, s7, s1
	v_add_co_ci_u32_e64 v2, null, s9, v2, vcc_lo
	s_subb_u32 s7, 0, 0
	s_waitcnt vmcnt(0)
	v_add_co_u32 v3, vcc_lo, s1, v3
	v_add_co_ci_u32_e64 v4, null, s7, v4, vcc_lo
	global_store_dwordx2 v[1:2], v[3:4], off
.LBB11_2:
	s_or_b32 exec_lo, exec_lo, s6
	s_mov_b32 s1, exec_lo
	v_cmpx_eq_u32_e32 0, v0
	s_cbranch_execz .LBB11_4
; %bb.3:
	s_ashr_i32 s1, s0, 31
	v_mov_b32_e32 v2, 0
	s_lshl_b64 s[0:1], s[0:1], 3
	s_add_u32 s0, s2, s0
	s_addc_u32 s1, s3, s1
	s_clause 0x1
	s_load_dwordx2 s[0:1], s[0:1], 0x0
	s_load_dwordx2 s[2:3], s[2:3], 0x0
	;; [unrolled: 1-line block ×3, first 2 shown]
	s_waitcnt lgkmcnt(0)
	s_sub_u32 s0, s0, s2
	s_subb_u32 s1, s1, s3
	v_mov_b32_e32 v0, s0
	v_mov_b32_e32 v1, s1
	global_store_dwordx2 v2, v[0:1], s[4:5]
.LBB11_4:
	s_endpgm
	.section	.rodata,"a",@progbits
	.p2align	6, 0x0
	.amdhsa_kernel _ZN9rocsparseL39csr2bsr_nnz_block_dim_equals_one_kernelILj256EliEEvT1_21rocsparse_index_base_PKT0_S2_PS3_S6_
		.amdhsa_group_segment_fixed_size 0
		.amdhsa_private_segment_fixed_size 0
		.amdhsa_kernarg_size 296
		.amdhsa_user_sgpr_count 6
		.amdhsa_user_sgpr_private_segment_buffer 1
		.amdhsa_user_sgpr_dispatch_ptr 0
		.amdhsa_user_sgpr_queue_ptr 0
		.amdhsa_user_sgpr_kernarg_segment_ptr 1
		.amdhsa_user_sgpr_dispatch_id 0
		.amdhsa_user_sgpr_flat_scratch_init 0
		.amdhsa_user_sgpr_private_segment_size 0
		.amdhsa_wavefront_size32 1
		.amdhsa_uses_dynamic_stack 0
		.amdhsa_system_sgpr_private_segment_wavefront_offset 0
		.amdhsa_system_sgpr_workgroup_id_x 1
		.amdhsa_system_sgpr_workgroup_id_y 0
		.amdhsa_system_sgpr_workgroup_id_z 0
		.amdhsa_system_sgpr_workgroup_info 0
		.amdhsa_system_vgpr_workitem_id 0
		.amdhsa_next_free_vgpr 5
		.amdhsa_next_free_sgpr 10
		.amdhsa_reserve_vcc 1
		.amdhsa_reserve_flat_scratch 0
		.amdhsa_float_round_mode_32 0
		.amdhsa_float_round_mode_16_64 0
		.amdhsa_float_denorm_mode_32 3
		.amdhsa_float_denorm_mode_16_64 3
		.amdhsa_dx10_clamp 1
		.amdhsa_ieee_mode 1
		.amdhsa_fp16_overflow 0
		.amdhsa_workgroup_processor_mode 1
		.amdhsa_memory_ordered 1
		.amdhsa_forward_progress 1
		.amdhsa_shared_vgpr_count 0
		.amdhsa_exception_fp_ieee_invalid_op 0
		.amdhsa_exception_fp_denorm_src 0
		.amdhsa_exception_fp_ieee_div_zero 0
		.amdhsa_exception_fp_ieee_overflow 0
		.amdhsa_exception_fp_ieee_underflow 0
		.amdhsa_exception_fp_ieee_inexact 0
		.amdhsa_exception_int_div_zero 0
	.end_amdhsa_kernel
	.section	.text._ZN9rocsparseL39csr2bsr_nnz_block_dim_equals_one_kernelILj256EliEEvT1_21rocsparse_index_base_PKT0_S2_PS3_S6_,"axG",@progbits,_ZN9rocsparseL39csr2bsr_nnz_block_dim_equals_one_kernelILj256EliEEvT1_21rocsparse_index_base_PKT0_S2_PS3_S6_,comdat
.Lfunc_end11:
	.size	_ZN9rocsparseL39csr2bsr_nnz_block_dim_equals_one_kernelILj256EliEEvT1_21rocsparse_index_base_PKT0_S2_PS3_S6_, .Lfunc_end11-_ZN9rocsparseL39csr2bsr_nnz_block_dim_equals_one_kernelILj256EliEEvT1_21rocsparse_index_base_PKT0_S2_PS3_S6_
                                        ; -- End function
	.set _ZN9rocsparseL39csr2bsr_nnz_block_dim_equals_one_kernelILj256EliEEvT1_21rocsparse_index_base_PKT0_S2_PS3_S6_.num_vgpr, 5
	.set _ZN9rocsparseL39csr2bsr_nnz_block_dim_equals_one_kernelILj256EliEEvT1_21rocsparse_index_base_PKT0_S2_PS3_S6_.num_agpr, 0
	.set _ZN9rocsparseL39csr2bsr_nnz_block_dim_equals_one_kernelILj256EliEEvT1_21rocsparse_index_base_PKT0_S2_PS3_S6_.numbered_sgpr, 10
	.set _ZN9rocsparseL39csr2bsr_nnz_block_dim_equals_one_kernelILj256EliEEvT1_21rocsparse_index_base_PKT0_S2_PS3_S6_.num_named_barrier, 0
	.set _ZN9rocsparseL39csr2bsr_nnz_block_dim_equals_one_kernelILj256EliEEvT1_21rocsparse_index_base_PKT0_S2_PS3_S6_.private_seg_size, 0
	.set _ZN9rocsparseL39csr2bsr_nnz_block_dim_equals_one_kernelILj256EliEEvT1_21rocsparse_index_base_PKT0_S2_PS3_S6_.uses_vcc, 1
	.set _ZN9rocsparseL39csr2bsr_nnz_block_dim_equals_one_kernelILj256EliEEvT1_21rocsparse_index_base_PKT0_S2_PS3_S6_.uses_flat_scratch, 0
	.set _ZN9rocsparseL39csr2bsr_nnz_block_dim_equals_one_kernelILj256EliEEvT1_21rocsparse_index_base_PKT0_S2_PS3_S6_.has_dyn_sized_stack, 0
	.set _ZN9rocsparseL39csr2bsr_nnz_block_dim_equals_one_kernelILj256EliEEvT1_21rocsparse_index_base_PKT0_S2_PS3_S6_.has_recursion, 0
	.set _ZN9rocsparseL39csr2bsr_nnz_block_dim_equals_one_kernelILj256EliEEvT1_21rocsparse_index_base_PKT0_S2_PS3_S6_.has_indirect_call, 0
	.section	.AMDGPU.csdata,"",@progbits
; Kernel info:
; codeLenInByte = 264
; TotalNumSgprs: 12
; NumVgprs: 5
; ScratchSize: 0
; MemoryBound: 1
; FloatMode: 240
; IeeeMode: 1
; LDSByteSize: 0 bytes/workgroup (compile time only)
; SGPRBlocks: 0
; VGPRBlocks: 0
; NumSGPRsForWavesPerEU: 12
; NumVGPRsForWavesPerEU: 5
; Occupancy: 16
; WaveLimiterHint : 0
; COMPUTE_PGM_RSRC2:SCRATCH_EN: 0
; COMPUTE_PGM_RSRC2:USER_SGPR: 6
; COMPUTE_PGM_RSRC2:TRAP_HANDLER: 0
; COMPUTE_PGM_RSRC2:TGID_X_EN: 1
; COMPUTE_PGM_RSRC2:TGID_Y_EN: 0
; COMPUTE_PGM_RSRC2:TGID_Z_EN: 0
; COMPUTE_PGM_RSRC2:TIDIG_COMP_CNT: 0
	.section	.text._ZN9rocsparseL39csr2bsr_nnz_block_dim_equals_one_kernelILj256EliEEvT1_21rocsparse_index_base_PKT0_S2_PS3_,"axG",@progbits,_ZN9rocsparseL39csr2bsr_nnz_block_dim_equals_one_kernelILj256EliEEvT1_21rocsparse_index_base_PKT0_S2_PS3_,comdat
	.globl	_ZN9rocsparseL39csr2bsr_nnz_block_dim_equals_one_kernelILj256EliEEvT1_21rocsparse_index_base_PKT0_S2_PS3_ ; -- Begin function _ZN9rocsparseL39csr2bsr_nnz_block_dim_equals_one_kernelILj256EliEEvT1_21rocsparse_index_base_PKT0_S2_PS3_
	.p2align	8
	.type	_ZN9rocsparseL39csr2bsr_nnz_block_dim_equals_one_kernelILj256EliEEvT1_21rocsparse_index_base_PKT0_S2_PS3_,@function
_ZN9rocsparseL39csr2bsr_nnz_block_dim_equals_one_kernelILj256EliEEvT1_21rocsparse_index_base_PKT0_S2_PS3_: ; @_ZN9rocsparseL39csr2bsr_nnz_block_dim_equals_one_kernelILj256EliEEvT1_21rocsparse_index_base_PKT0_S2_PS3_
; %bb.0:
	s_load_dwordx2 s[0:1], s[4:5], 0x0
	v_lshl_or_b32 v0, s6, 8, v0
	s_waitcnt lgkmcnt(0)
	v_cmp_ge_i32_e32 vcc_lo, s0, v0
	s_and_saveexec_b32 s0, vcc_lo
	s_cbranch_execz .LBB12_2
; %bb.1:
	s_clause 0x1
	s_load_dwordx2 s[2:3], s[4:5], 0x8
	s_load_dword s0, s[4:5], 0x10
	v_ashrrev_i32_e32 v1, 31, v0
	v_lshlrev_b64 v[0:1], 3, v[0:1]
	s_waitcnt lgkmcnt(0)
	v_add_co_u32 v2, vcc_lo, s2, v0
	v_add_co_ci_u32_e64 v3, null, s3, v1, vcc_lo
	s_load_dwordx2 s[2:3], s[4:5], 0x18
	s_sub_u32 s0, s0, s1
	s_subb_u32 s1, 0, 0
	global_load_dwordx2 v[2:3], v[2:3], off
	s_waitcnt lgkmcnt(0)
	v_add_co_u32 v0, vcc_lo, s2, v0
	v_add_co_ci_u32_e64 v1, null, s3, v1, vcc_lo
	s_waitcnt vmcnt(0)
	v_add_co_u32 v2, vcc_lo, s0, v2
	v_add_co_ci_u32_e64 v3, null, s1, v3, vcc_lo
	global_store_dwordx2 v[0:1], v[2:3], off
.LBB12_2:
	s_endpgm
	.section	.rodata,"a",@progbits
	.p2align	6, 0x0
	.amdhsa_kernel _ZN9rocsparseL39csr2bsr_nnz_block_dim_equals_one_kernelILj256EliEEvT1_21rocsparse_index_base_PKT0_S2_PS3_
		.amdhsa_group_segment_fixed_size 0
		.amdhsa_private_segment_fixed_size 0
		.amdhsa_kernarg_size 32
		.amdhsa_user_sgpr_count 6
		.amdhsa_user_sgpr_private_segment_buffer 1
		.amdhsa_user_sgpr_dispatch_ptr 0
		.amdhsa_user_sgpr_queue_ptr 0
		.amdhsa_user_sgpr_kernarg_segment_ptr 1
		.amdhsa_user_sgpr_dispatch_id 0
		.amdhsa_user_sgpr_flat_scratch_init 0
		.amdhsa_user_sgpr_private_segment_size 0
		.amdhsa_wavefront_size32 1
		.amdhsa_uses_dynamic_stack 0
		.amdhsa_system_sgpr_private_segment_wavefront_offset 0
		.amdhsa_system_sgpr_workgroup_id_x 1
		.amdhsa_system_sgpr_workgroup_id_y 0
		.amdhsa_system_sgpr_workgroup_id_z 0
		.amdhsa_system_sgpr_workgroup_info 0
		.amdhsa_system_vgpr_workitem_id 0
		.amdhsa_next_free_vgpr 4
		.amdhsa_next_free_sgpr 7
		.amdhsa_reserve_vcc 1
		.amdhsa_reserve_flat_scratch 0
		.amdhsa_float_round_mode_32 0
		.amdhsa_float_round_mode_16_64 0
		.amdhsa_float_denorm_mode_32 3
		.amdhsa_float_denorm_mode_16_64 3
		.amdhsa_dx10_clamp 1
		.amdhsa_ieee_mode 1
		.amdhsa_fp16_overflow 0
		.amdhsa_workgroup_processor_mode 1
		.amdhsa_memory_ordered 1
		.amdhsa_forward_progress 1
		.amdhsa_shared_vgpr_count 0
		.amdhsa_exception_fp_ieee_invalid_op 0
		.amdhsa_exception_fp_denorm_src 0
		.amdhsa_exception_fp_ieee_div_zero 0
		.amdhsa_exception_fp_ieee_overflow 0
		.amdhsa_exception_fp_ieee_underflow 0
		.amdhsa_exception_fp_ieee_inexact 0
		.amdhsa_exception_int_div_zero 0
	.end_amdhsa_kernel
	.section	.text._ZN9rocsparseL39csr2bsr_nnz_block_dim_equals_one_kernelILj256EliEEvT1_21rocsparse_index_base_PKT0_S2_PS3_,"axG",@progbits,_ZN9rocsparseL39csr2bsr_nnz_block_dim_equals_one_kernelILj256EliEEvT1_21rocsparse_index_base_PKT0_S2_PS3_,comdat
.Lfunc_end12:
	.size	_ZN9rocsparseL39csr2bsr_nnz_block_dim_equals_one_kernelILj256EliEEvT1_21rocsparse_index_base_PKT0_S2_PS3_, .Lfunc_end12-_ZN9rocsparseL39csr2bsr_nnz_block_dim_equals_one_kernelILj256EliEEvT1_21rocsparse_index_base_PKT0_S2_PS3_
                                        ; -- End function
	.set _ZN9rocsparseL39csr2bsr_nnz_block_dim_equals_one_kernelILj256EliEEvT1_21rocsparse_index_base_PKT0_S2_PS3_.num_vgpr, 4
	.set _ZN9rocsparseL39csr2bsr_nnz_block_dim_equals_one_kernelILj256EliEEvT1_21rocsparse_index_base_PKT0_S2_PS3_.num_agpr, 0
	.set _ZN9rocsparseL39csr2bsr_nnz_block_dim_equals_one_kernelILj256EliEEvT1_21rocsparse_index_base_PKT0_S2_PS3_.numbered_sgpr, 7
	.set _ZN9rocsparseL39csr2bsr_nnz_block_dim_equals_one_kernelILj256EliEEvT1_21rocsparse_index_base_PKT0_S2_PS3_.num_named_barrier, 0
	.set _ZN9rocsparseL39csr2bsr_nnz_block_dim_equals_one_kernelILj256EliEEvT1_21rocsparse_index_base_PKT0_S2_PS3_.private_seg_size, 0
	.set _ZN9rocsparseL39csr2bsr_nnz_block_dim_equals_one_kernelILj256EliEEvT1_21rocsparse_index_base_PKT0_S2_PS3_.uses_vcc, 1
	.set _ZN9rocsparseL39csr2bsr_nnz_block_dim_equals_one_kernelILj256EliEEvT1_21rocsparse_index_base_PKT0_S2_PS3_.uses_flat_scratch, 0
	.set _ZN9rocsparseL39csr2bsr_nnz_block_dim_equals_one_kernelILj256EliEEvT1_21rocsparse_index_base_PKT0_S2_PS3_.has_dyn_sized_stack, 0
	.set _ZN9rocsparseL39csr2bsr_nnz_block_dim_equals_one_kernelILj256EliEEvT1_21rocsparse_index_base_PKT0_S2_PS3_.has_recursion, 0
	.set _ZN9rocsparseL39csr2bsr_nnz_block_dim_equals_one_kernelILj256EliEEvT1_21rocsparse_index_base_PKT0_S2_PS3_.has_indirect_call, 0
	.section	.AMDGPU.csdata,"",@progbits
; Kernel info:
; codeLenInByte = 160
; TotalNumSgprs: 9
; NumVgprs: 4
; ScratchSize: 0
; MemoryBound: 0
; FloatMode: 240
; IeeeMode: 1
; LDSByteSize: 0 bytes/workgroup (compile time only)
; SGPRBlocks: 0
; VGPRBlocks: 0
; NumSGPRsForWavesPerEU: 9
; NumVGPRsForWavesPerEU: 4
; Occupancy: 16
; WaveLimiterHint : 0
; COMPUTE_PGM_RSRC2:SCRATCH_EN: 0
; COMPUTE_PGM_RSRC2:USER_SGPR: 6
; COMPUTE_PGM_RSRC2:TRAP_HANDLER: 0
; COMPUTE_PGM_RSRC2:TGID_X_EN: 1
; COMPUTE_PGM_RSRC2:TGID_Y_EN: 0
; COMPUTE_PGM_RSRC2:TGID_Z_EN: 0
; COMPUTE_PGM_RSRC2:TIDIG_COMP_CNT: 0
	.section	.text._ZN9rocsparseL46csr2bsr_nnz_wavefront_per_row_multipass_kernelILj256ELj16ELj4EliEEvT3_S1_S1_S1_S1_21rocsparse_index_base_PKT2_PKS1_S2_PS3_,"axG",@progbits,_ZN9rocsparseL46csr2bsr_nnz_wavefront_per_row_multipass_kernelILj256ELj16ELj4EliEEvT3_S1_S1_S1_S1_21rocsparse_index_base_PKT2_PKS1_S2_PS3_,comdat
	.globl	_ZN9rocsparseL46csr2bsr_nnz_wavefront_per_row_multipass_kernelILj256ELj16ELj4EliEEvT3_S1_S1_S1_S1_21rocsparse_index_base_PKT2_PKS1_S2_PS3_ ; -- Begin function _ZN9rocsparseL46csr2bsr_nnz_wavefront_per_row_multipass_kernelILj256ELj16ELj4EliEEvT3_S1_S1_S1_S1_21rocsparse_index_base_PKT2_PKS1_S2_PS3_
	.p2align	8
	.type	_ZN9rocsparseL46csr2bsr_nnz_wavefront_per_row_multipass_kernelILj256ELj16ELj4EliEEvT3_S1_S1_S1_S1_21rocsparse_index_base_PKT2_PKS1_S2_PS3_,@function
_ZN9rocsparseL46csr2bsr_nnz_wavefront_per_row_multipass_kernelILj256ELj16ELj4EliEEvT3_S1_S1_S1_S1_21rocsparse_index_base_PKT2_PKS1_S2_PS3_: ; @_ZN9rocsparseL46csr2bsr_nnz_wavefront_per_row_multipass_kernelILj256ELj16ELj4EliEEvT3_S1_S1_S1_S1_21rocsparse_index_base_PKT2_PKS1_S2_PS3_
; %bb.0:
	s_clause 0x1
	s_load_dwordx4 s[8:11], s[4:5], 0x8
	s_load_dword s0, s[4:5], 0x0
	v_lshrrev_b32_e32 v17, 4, v0
	v_bfe_u32 v2, v0, 2, 2
	s_load_dwordx2 s[2:3], s[4:5], 0x18
	v_mov_b32_e32 v6, 0
	v_mov_b32_e32 v7, 0
	v_lshl_or_b32 v1, s6, 4, v17
	v_lshlrev_b32_e32 v16, 2, v17
	s_waitcnt lgkmcnt(0)
	v_mad_u64_u32 v[4:5], null, v1, s10, v[2:3]
	v_cmp_gt_i32_e32 vcc_lo, s10, v2
	v_mov_b32_e32 v2, 0
	v_mov_b32_e32 v5, 0
	;; [unrolled: 1-line block ×3, first 2 shown]
	v_cmp_gt_i32_e64 s0, s0, v4
	ds_write_b32 v16, v5
	s_waitcnt lgkmcnt(0)
	s_barrier
	buffer_gl0_inv
	s_and_b32 s0, vcc_lo, s0
	s_and_saveexec_b32 s1, s0
	s_cbranch_execz .LBB13_2
; %bb.1:
	v_ashrrev_i32_e32 v5, 31, v4
	v_lshlrev_b64 v[5:6], 3, v[4:5]
	v_add_co_u32 v5, vcc_lo, s2, v5
	v_add_co_ci_u32_e64 v6, null, s3, v6, vcc_lo
	global_load_dwordx2 v[6:7], v[5:6], off
	s_waitcnt vmcnt(0)
	v_sub_co_u32 v6, vcc_lo, v6, s11
	v_subrev_co_ci_u32_e64 v7, null, 0, v7, vcc_lo
.LBB13_2:
	s_or_b32 exec_lo, exec_lo, s1
	s_and_saveexec_b32 s1, s0
	s_cbranch_execz .LBB13_4
; %bb.3:
	v_ashrrev_i32_e32 v5, 31, v4
	v_lshlrev_b64 v[2:3], 3, v[4:5]
	v_add_co_u32 v2, vcc_lo, s2, v2
	v_add_co_ci_u32_e64 v3, null, s3, v3, vcc_lo
	global_load_dwordx2 v[2:3], v[2:3], off offset:8
	s_waitcnt vmcnt(0)
	v_sub_co_u32 v2, vcc_lo, v2, s11
	v_subrev_co_ci_u32_e64 v3, null, 0, v3, vcc_lo
.LBB13_4:
	s_or_b32 exec_lo, exec_lo, s1
	v_and_b32_e32 v18, 15, v0
	s_cmp_lt_i32 s9, 1
	v_cmp_eq_u32_e32 vcc_lo, 0, v18
	s_cbranch_scc1 .LBB13_18
; %bb.5:
	s_abs_i32 s6, s10
	v_mbcnt_lo_u32_b32 v8, -1, 0
	v_cvt_f32_u32_e32 v4, s6
	s_sub_i32 s0, 0, s6
	s_load_dwordx2 s[2:3], s[4:5], 0x20
	v_and_b32_e32 v0, 3, v0
	v_xor_b32_e32 v10, 2, v8
	v_rcp_iflag_f32_e32 v4, v4
	v_xor_b32_e32 v11, 1, v8
	v_xor_b32_e32 v13, 8, v8
	;; [unrolled: 1-line block ×3, first 2 shown]
	v_lshlrev_b32_e32 v12, 2, v8
	v_mov_b32_e32 v19, 0
	v_mov_b32_e32 v27, 1
	s_mov_b32 s7, 0
	s_ashr_i32 s10, s10, 31
	v_or_b32_e32 v20, 12, v12
	v_mul_f32_e32 v9, 0x4f7ffffe, v4
	v_mov_b32_e32 v4, 0
	v_mov_b32_e32 v5, 0
	v_or_b32_e32 v21, 60, v12
	v_cvt_u32_f32_e32 v9, v9
	v_mul_lo_u32 v15, s0, v9
	v_cmp_gt_i32_e64 s0, 32, v10
	v_cndmask_b32_e64 v10, v8, v10, s0
	v_cmp_gt_i32_e64 s0, 32, v11
	v_mul_hi_u32 v15, v9, v15
	v_lshlrev_b32_e32 v22, 2, v10
	v_cndmask_b32_e64 v11, v8, v11, s0
	v_cmp_gt_i32_e64 s0, 32, v13
	v_add_nc_u32_e32 v26, v9, v15
	v_lshlrev_b32_e32 v23, 2, v11
	v_cndmask_b32_e64 v13, v8, v13, s0
	v_cmp_gt_i32_e64 s0, 32, v14
	v_lshlrev_b32_e32 v24, 2, v13
	v_cndmask_b32_e64 v8, v8, v14, s0
	v_lshlrev_b32_e32 v25, 2, v8
	s_branch .LBB13_7
.LBB13_6:                               ;   in Loop: Header=BB13_7 Depth=1
	s_or_b32 exec_lo, exec_lo, s0
	ds_bpermute_b32 v4, v24, v28
	s_waitcnt lgkmcnt(0)
	buffer_gl0_inv
	v_min_i32_e32 v4, v4, v28
	ds_bpermute_b32 v5, v25, v4
	s_waitcnt lgkmcnt(0)
	v_min_i32_e32 v4, v5, v4
	ds_bpermute_b32 v5, v22, v4
	s_waitcnt lgkmcnt(0)
	;; [unrolled: 3-line block ×4, first 2 shown]
	v_cmp_le_i32_e64 s0, s9, v4
	v_ashrrev_i32_e32 v5, 31, v4
	s_or_b32 s7, s0, s7
	s_andn2_b32 exec_lo, exec_lo, s7
	s_cbranch_execz .LBB13_17
.LBB13_7:                               ; =>This Loop Header: Depth=1
                                        ;     Child Loop BB13_10 Depth 2
	v_add_co_u32 v6, s0, v6, v0
	v_mov_b32_e32 v11, v3
	v_add_co_ci_u32_e64 v7, null, 0, v7, s0
	v_mov_b32_e32 v28, s9
	v_mov_b32_e32 v10, v2
	s_mov_b32 s12, exec_lo
	ds_write_b8 v17, v19 offset:64
	s_waitcnt lgkmcnt(0)
	buffer_gl0_inv
	v_cmpx_lt_i64_e64 v[6:7], v[2:3]
	s_cbranch_execz .LBB13_15
; %bb.8:                                ;   in Loop: Header=BB13_7 Depth=1
	v_lshlrev_b64 v[8:9], 2, v[6:7]
	v_mov_b32_e32 v11, v3
	v_mov_b32_e32 v28, s9
	;; [unrolled: 1-line block ×3, first 2 shown]
	s_mov_b32 s13, 0
	v_add_co_u32 v8, s0, s2, v8
	v_add_co_ci_u32_e64 v9, null, s3, v9, s0
	s_branch .LBB13_10
.LBB13_9:                               ;   in Loop: Header=BB13_10 Depth=2
	s_or_b32 exec_lo, exec_lo, s1
	v_add_co_u32 v6, s1, v6, 4
	v_add_co_ci_u32_e64 v7, null, 0, v7, s1
	s_xor_b32 s0, s0, -1
	v_cmp_ge_i64_e64 s1, v[6:7], v[2:3]
	s_or_b32 s1, s0, s1
	v_add_co_u32 v8, s0, v8, 16
	v_add_co_ci_u32_e64 v9, null, 0, v9, s0
	s_and_b32 s0, exec_lo, s1
	s_or_b32 s13, s0, s13
	s_andn2_b32 exec_lo, exec_lo, s13
	s_cbranch_execz .LBB13_14
.LBB13_10:                              ;   Parent Loop BB13_7 Depth=1
                                        ; =>  This Inner Loop Header: Depth=2
	global_load_dword v12, v[8:9], off
	s_waitcnt vmcnt(0)
	v_subrev_nc_u32_e32 v12, s11, v12
	v_sub_nc_u32_e32 v13, 0, v12
	v_max_i32_e32 v13, v12, v13
	v_ashrrev_i32_e32 v12, 31, v12
	v_mul_hi_u32 v14, v13, v26
	v_xor_b32_e32 v12, s10, v12
	v_mul_lo_u32 v15, v14, s6
	v_sub_nc_u32_e32 v13, v13, v15
	v_add_nc_u32_e32 v15, 1, v14
	v_subrev_nc_u32_e32 v29, s6, v13
	v_cmp_le_u32_e64 s0, s6, v13
	v_cndmask_b32_e64 v14, v14, v15, s0
	v_cndmask_b32_e64 v13, v13, v29, s0
	v_add_nc_u32_e32 v15, 1, v14
	v_cmp_le_u32_e64 s0, s6, v13
	v_cndmask_b32_e64 v13, v14, v15, s0
	v_xor_b32_e32 v13, v13, v12
	v_sub_nc_u32_e32 v14, v13, v12
	v_mov_b32_e32 v13, v11
	v_mov_b32_e32 v12, v10
	v_ashrrev_i32_e32 v15, 31, v14
	v_cmp_eq_u64_e64 s0, v[4:5], v[14:15]
	v_cmp_ne_u64_e64 s1, v[4:5], v[14:15]
	s_and_saveexec_b32 s14, s1
	s_xor_b32 s1, exec_lo, s14
; %bb.11:                               ;   in Loop: Header=BB13_10 Depth=2
	v_min_i32_e32 v28, v14, v28
                                        ; implicit-def: $vgpr12_vgpr13
; %bb.12:                               ;   in Loop: Header=BB13_10 Depth=2
	s_or_saveexec_b32 s1, s1
	v_mov_b32_e32 v11, v7
	v_mov_b32_e32 v10, v6
	s_xor_b32 exec_lo, exec_lo, s1
	s_cbranch_execz .LBB13_9
; %bb.13:                               ;   in Loop: Header=BB13_10 Depth=2
	v_mov_b32_e32 v10, v12
	v_mov_b32_e32 v11, v13
	ds_write_b8 v17, v27 offset:64
	s_branch .LBB13_9
.LBB13_14:                              ;   in Loop: Header=BB13_7 Depth=1
	s_or_b32 exec_lo, exec_lo, s13
.LBB13_15:                              ;   in Loop: Header=BB13_7 Depth=1
	s_or_b32 exec_lo, exec_lo, s12
	ds_bpermute_b32 v4, v22, v10
	ds_bpermute_b32 v5, v22, v11
	s_waitcnt lgkmcnt(0)
	buffer_gl0_inv
	ds_read_u8 v8, v17 offset:64
	v_cmp_lt_i64_e64 s0, v[4:5], v[10:11]
	v_cndmask_b32_e64 v5, v11, v5, s0
	v_cndmask_b32_e64 v4, v10, v4, s0
	ds_bpermute_b32 v7, v23, v5
	ds_bpermute_b32 v6, v23, v4
	s_waitcnt lgkmcnt(0)
	v_cmp_lt_i64_e64 s0, v[6:7], v[4:5]
	v_cndmask_b32_e64 v5, v5, v7, s0
	v_cndmask_b32_e64 v4, v4, v6, s0
	ds_bpermute_b32 v7, v20, v5
	ds_bpermute_b32 v6, v20, v4
	v_and_b32_e32 v4, 1, v8
	v_cmp_eq_u32_e64 s0, 1, v4
	s_and_b32 s1, vcc_lo, s0
	s_and_saveexec_b32 s0, s1
	s_cbranch_execz .LBB13_6
; %bb.16:                               ;   in Loop: Header=BB13_7 Depth=1
	ds_read_b32 v4, v16
	s_waitcnt lgkmcnt(0)
	v_add_nc_u32_e32 v4, 1, v4
	ds_write_b32 v16, v4
	s_branch .LBB13_6
.LBB13_17:
	s_or_b32 exec_lo, exec_lo, s7
.LBB13_18:
	s_mov_b32 s0, exec_lo
	v_cmpx_eq_u32_e32 0, v18
	s_cbranch_execz .LBB13_21
; %bb.19:
	s_clause 0x1
	s_load_dword s2, s[4:5], 0x28
	s_load_dwordx2 s[0:1], s[4:5], 0x30
	v_mov_b32_e32 v3, 0
	v_cmp_gt_u32_e32 vcc_lo, s8, v1
	s_waitcnt lgkmcnt(0)
	v_mov_b32_e32 v2, s2
	global_store_dwordx2 v3, v[2:3], s[0:1]
	s_and_b32 exec_lo, exec_lo, vcc_lo
	s_cbranch_execz .LBB13_21
; %bb.20:
	ds_read_b32 v0, v16
	v_mov_b32_e32 v2, v3
	v_lshlrev_b64 v[1:2], 3, v[1:2]
	v_add_co_u32 v3, vcc_lo, s0, v1
	v_add_co_ci_u32_e64 v4, null, s1, v2, vcc_lo
	s_waitcnt lgkmcnt(0)
	v_ashrrev_i32_e32 v1, 31, v0
	global_store_dwordx2 v[3:4], v[0:1], off offset:8
.LBB13_21:
	s_endpgm
	.section	.rodata,"a",@progbits
	.p2align	6, 0x0
	.amdhsa_kernel _ZN9rocsparseL46csr2bsr_nnz_wavefront_per_row_multipass_kernelILj256ELj16ELj4EliEEvT3_S1_S1_S1_S1_21rocsparse_index_base_PKT2_PKS1_S2_PS3_
		.amdhsa_group_segment_fixed_size 80
		.amdhsa_private_segment_fixed_size 0
		.amdhsa_kernarg_size 56
		.amdhsa_user_sgpr_count 6
		.amdhsa_user_sgpr_private_segment_buffer 1
		.amdhsa_user_sgpr_dispatch_ptr 0
		.amdhsa_user_sgpr_queue_ptr 0
		.amdhsa_user_sgpr_kernarg_segment_ptr 1
		.amdhsa_user_sgpr_dispatch_id 0
		.amdhsa_user_sgpr_flat_scratch_init 0
		.amdhsa_user_sgpr_private_segment_size 0
		.amdhsa_wavefront_size32 1
		.amdhsa_uses_dynamic_stack 0
		.amdhsa_system_sgpr_private_segment_wavefront_offset 0
		.amdhsa_system_sgpr_workgroup_id_x 1
		.amdhsa_system_sgpr_workgroup_id_y 0
		.amdhsa_system_sgpr_workgroup_id_z 0
		.amdhsa_system_sgpr_workgroup_info 0
		.amdhsa_system_vgpr_workitem_id 0
		.amdhsa_next_free_vgpr 30
		.amdhsa_next_free_sgpr 15
		.amdhsa_reserve_vcc 1
		.amdhsa_reserve_flat_scratch 0
		.amdhsa_float_round_mode_32 0
		.amdhsa_float_round_mode_16_64 0
		.amdhsa_float_denorm_mode_32 3
		.amdhsa_float_denorm_mode_16_64 3
		.amdhsa_dx10_clamp 1
		.amdhsa_ieee_mode 1
		.amdhsa_fp16_overflow 0
		.amdhsa_workgroup_processor_mode 1
		.amdhsa_memory_ordered 1
		.amdhsa_forward_progress 1
		.amdhsa_shared_vgpr_count 0
		.amdhsa_exception_fp_ieee_invalid_op 0
		.amdhsa_exception_fp_denorm_src 0
		.amdhsa_exception_fp_ieee_div_zero 0
		.amdhsa_exception_fp_ieee_overflow 0
		.amdhsa_exception_fp_ieee_underflow 0
		.amdhsa_exception_fp_ieee_inexact 0
		.amdhsa_exception_int_div_zero 0
	.end_amdhsa_kernel
	.section	.text._ZN9rocsparseL46csr2bsr_nnz_wavefront_per_row_multipass_kernelILj256ELj16ELj4EliEEvT3_S1_S1_S1_S1_21rocsparse_index_base_PKT2_PKS1_S2_PS3_,"axG",@progbits,_ZN9rocsparseL46csr2bsr_nnz_wavefront_per_row_multipass_kernelILj256ELj16ELj4EliEEvT3_S1_S1_S1_S1_21rocsparse_index_base_PKT2_PKS1_S2_PS3_,comdat
.Lfunc_end13:
	.size	_ZN9rocsparseL46csr2bsr_nnz_wavefront_per_row_multipass_kernelILj256ELj16ELj4EliEEvT3_S1_S1_S1_S1_21rocsparse_index_base_PKT2_PKS1_S2_PS3_, .Lfunc_end13-_ZN9rocsparseL46csr2bsr_nnz_wavefront_per_row_multipass_kernelILj256ELj16ELj4EliEEvT3_S1_S1_S1_S1_21rocsparse_index_base_PKT2_PKS1_S2_PS3_
                                        ; -- End function
	.set _ZN9rocsparseL46csr2bsr_nnz_wavefront_per_row_multipass_kernelILj256ELj16ELj4EliEEvT3_S1_S1_S1_S1_21rocsparse_index_base_PKT2_PKS1_S2_PS3_.num_vgpr, 30
	.set _ZN9rocsparseL46csr2bsr_nnz_wavefront_per_row_multipass_kernelILj256ELj16ELj4EliEEvT3_S1_S1_S1_S1_21rocsparse_index_base_PKT2_PKS1_S2_PS3_.num_agpr, 0
	.set _ZN9rocsparseL46csr2bsr_nnz_wavefront_per_row_multipass_kernelILj256ELj16ELj4EliEEvT3_S1_S1_S1_S1_21rocsparse_index_base_PKT2_PKS1_S2_PS3_.numbered_sgpr, 15
	.set _ZN9rocsparseL46csr2bsr_nnz_wavefront_per_row_multipass_kernelILj256ELj16ELj4EliEEvT3_S1_S1_S1_S1_21rocsparse_index_base_PKT2_PKS1_S2_PS3_.num_named_barrier, 0
	.set _ZN9rocsparseL46csr2bsr_nnz_wavefront_per_row_multipass_kernelILj256ELj16ELj4EliEEvT3_S1_S1_S1_S1_21rocsparse_index_base_PKT2_PKS1_S2_PS3_.private_seg_size, 0
	.set _ZN9rocsparseL46csr2bsr_nnz_wavefront_per_row_multipass_kernelILj256ELj16ELj4EliEEvT3_S1_S1_S1_S1_21rocsparse_index_base_PKT2_PKS1_S2_PS3_.uses_vcc, 1
	.set _ZN9rocsparseL46csr2bsr_nnz_wavefront_per_row_multipass_kernelILj256ELj16ELj4EliEEvT3_S1_S1_S1_S1_21rocsparse_index_base_PKT2_PKS1_S2_PS3_.uses_flat_scratch, 0
	.set _ZN9rocsparseL46csr2bsr_nnz_wavefront_per_row_multipass_kernelILj256ELj16ELj4EliEEvT3_S1_S1_S1_S1_21rocsparse_index_base_PKT2_PKS1_S2_PS3_.has_dyn_sized_stack, 0
	.set _ZN9rocsparseL46csr2bsr_nnz_wavefront_per_row_multipass_kernelILj256ELj16ELj4EliEEvT3_S1_S1_S1_S1_21rocsparse_index_base_PKT2_PKS1_S2_PS3_.has_recursion, 0
	.set _ZN9rocsparseL46csr2bsr_nnz_wavefront_per_row_multipass_kernelILj256ELj16ELj4EliEEvT3_S1_S1_S1_S1_21rocsparse_index_base_PKT2_PKS1_S2_PS3_.has_indirect_call, 0
	.section	.AMDGPU.csdata,"",@progbits
; Kernel info:
; codeLenInByte = 1264
; TotalNumSgprs: 17
; NumVgprs: 30
; ScratchSize: 0
; MemoryBound: 0
; FloatMode: 240
; IeeeMode: 1
; LDSByteSize: 80 bytes/workgroup (compile time only)
; SGPRBlocks: 0
; VGPRBlocks: 3
; NumSGPRsForWavesPerEU: 17
; NumVGPRsForWavesPerEU: 30
; Occupancy: 16
; WaveLimiterHint : 0
; COMPUTE_PGM_RSRC2:SCRATCH_EN: 0
; COMPUTE_PGM_RSRC2:USER_SGPR: 6
; COMPUTE_PGM_RSRC2:TRAP_HANDLER: 0
; COMPUTE_PGM_RSRC2:TGID_X_EN: 1
; COMPUTE_PGM_RSRC2:TGID_Y_EN: 0
; COMPUTE_PGM_RSRC2:TGID_Z_EN: 0
; COMPUTE_PGM_RSRC2:TIDIG_COMP_CNT: 0
	.section	.text._ZN9rocsparseL46csr2bsr_nnz_wavefront_per_row_multipass_kernelILj256ELj64ELj8EliEEvT3_S1_S1_S1_S1_21rocsparse_index_base_PKT2_PKS1_S2_PS3_,"axG",@progbits,_ZN9rocsparseL46csr2bsr_nnz_wavefront_per_row_multipass_kernelILj256ELj64ELj8EliEEvT3_S1_S1_S1_S1_21rocsparse_index_base_PKT2_PKS1_S2_PS3_,comdat
	.globl	_ZN9rocsparseL46csr2bsr_nnz_wavefront_per_row_multipass_kernelILj256ELj64ELj8EliEEvT3_S1_S1_S1_S1_21rocsparse_index_base_PKT2_PKS1_S2_PS3_ ; -- Begin function _ZN9rocsparseL46csr2bsr_nnz_wavefront_per_row_multipass_kernelILj256ELj64ELj8EliEEvT3_S1_S1_S1_S1_21rocsparse_index_base_PKT2_PKS1_S2_PS3_
	.p2align	8
	.type	_ZN9rocsparseL46csr2bsr_nnz_wavefront_per_row_multipass_kernelILj256ELj64ELj8EliEEvT3_S1_S1_S1_S1_21rocsparse_index_base_PKT2_PKS1_S2_PS3_,@function
_ZN9rocsparseL46csr2bsr_nnz_wavefront_per_row_multipass_kernelILj256ELj64ELj8EliEEvT3_S1_S1_S1_S1_21rocsparse_index_base_PKT2_PKS1_S2_PS3_: ; @_ZN9rocsparseL46csr2bsr_nnz_wavefront_per_row_multipass_kernelILj256ELj64ELj8EliEEvT3_S1_S1_S1_S1_21rocsparse_index_base_PKT2_PKS1_S2_PS3_
; %bb.0:
	s_clause 0x1
	s_load_dwordx4 s[8:11], s[4:5], 0x8
	s_load_dword s0, s[4:5], 0x0
	v_lshrrev_b32_e32 v17, 6, v0
	v_bfe_u32 v2, v0, 3, 3
	s_load_dwordx2 s[2:3], s[4:5], 0x18
	v_mov_b32_e32 v4, 0
	v_mov_b32_e32 v5, 0
	v_lshl_or_b32 v1, s6, 2, v17
	v_lshlrev_b32_e32 v16, 2, v17
	s_waitcnt lgkmcnt(0)
	v_mad_u64_u32 v[6:7], null, v1, s10, v[2:3]
	v_cmp_gt_i32_e32 vcc_lo, s10, v2
	v_mov_b32_e32 v2, 0
	v_mov_b32_e32 v7, 0
	;; [unrolled: 1-line block ×3, first 2 shown]
	v_cmp_gt_i32_e64 s0, s0, v6
	ds_write_b32 v16, v7
	s_waitcnt lgkmcnt(0)
	s_barrier
	buffer_gl0_inv
	s_and_b32 s0, vcc_lo, s0
	s_and_saveexec_b32 s1, s0
	s_cbranch_execz .LBB14_2
; %bb.1:
	v_ashrrev_i32_e32 v7, 31, v6
	v_lshlrev_b64 v[4:5], 3, v[6:7]
	v_add_co_u32 v4, vcc_lo, s2, v4
	v_add_co_ci_u32_e64 v5, null, s3, v5, vcc_lo
	global_load_dwordx2 v[4:5], v[4:5], off
	s_waitcnt vmcnt(0)
	v_sub_co_u32 v4, vcc_lo, v4, s11
	v_subrev_co_ci_u32_e64 v5, null, 0, v5, vcc_lo
.LBB14_2:
	s_or_b32 exec_lo, exec_lo, s1
	s_and_saveexec_b32 s1, s0
	s_cbranch_execz .LBB14_4
; %bb.3:
	v_ashrrev_i32_e32 v7, 31, v6
	v_lshlrev_b64 v[2:3], 3, v[6:7]
	v_add_co_u32 v2, vcc_lo, s2, v2
	v_add_co_ci_u32_e64 v3, null, s3, v3, vcc_lo
	global_load_dwordx2 v[2:3], v[2:3], off offset:8
	s_waitcnt vmcnt(0)
	v_sub_co_u32 v2, vcc_lo, v2, s11
	v_subrev_co_ci_u32_e64 v3, null, 0, v3, vcc_lo
.LBB14_4:
	s_or_b32 exec_lo, exec_lo, s1
	v_and_b32_e32 v18, 63, v0
	s_cmp_lt_i32 s9, 1
	v_cmp_eq_u32_e32 vcc_lo, 0, v18
	s_cbranch_scc1 .LBB14_18
; %bb.5:
	v_mbcnt_lo_u32_b32 v9, -1, 0
	s_abs_i32 s6, s10
	s_load_dwordx2 s[2:3], s[4:5], 0x20
	v_cvt_f32_u32_e32 v6, s6
	s_sub_i32 s1, 0, s6
	v_xor_b32_e32 v10, 4, v9
	v_xor_b32_e32 v11, 2, v9
	;; [unrolled: 1-line block ×3, first 2 shown]
	v_rcp_iflag_f32_e32 v8, v6
	v_or_b32_e32 v13, 32, v9
	v_cmp_gt_i32_e64 s0, 32, v10
	v_xor_b32_e32 v14, 16, v9
	v_xor_b32_e32 v15, 8, v9
	v_lshl_or_b32 v21, v9, 2, 28
	v_mov_b32_e32 v6, 0
	v_cndmask_b32_e64 v10, v9, v10, s0
	v_cmp_gt_i32_e64 s0, 32, v11
	v_and_b32_e32 v0, 7, v0
	v_mul_f32_e32 v8, 0x4f7ffffe, v8
	v_mov_b32_e32 v19, 0
	v_bfrev_b32_e32 v20, 0.5
	v_cndmask_b32_e64 v11, v9, v11, s0
	v_cmp_gt_i32_e64 s0, 32, v12
	v_cvt_u32_f32_e32 v8, v8
	v_mov_b32_e32 v7, 0
	v_mov_b32_e32 v29, 1
	v_lshlrev_b32_e32 v23, 2, v11
	v_cndmask_b32_e64 v12, v9, v12, s0
	v_cmp_gt_i32_e64 s0, 32, v13
	v_mul_lo_u32 v22, s1, v8
	s_mov_b32 s7, 0
	s_ashr_i32 s10, s10, 31
	v_lshlrev_b32_e32 v24, 2, v12
	v_cndmask_b32_e64 v13, v9, v13, s0
	v_cmp_gt_i32_e64 s0, 32, v14
	v_mul_hi_u32 v28, v8, v22
	v_lshlrev_b32_e32 v22, 2, v10
	v_cndmask_b32_e64 v14, v9, v14, s0
	v_cmp_gt_i32_e64 s0, 32, v15
	v_lshlrev_b32_e32 v25, 2, v13
	v_lshlrev_b32_e32 v26, 2, v14
	v_cndmask_b32_e64 v9, v9, v15, s0
	v_add_nc_u32_e32 v28, v8, v28
	v_lshlrev_b32_e32 v27, 2, v9
	s_branch .LBB14_7
.LBB14_6:                               ;   in Loop: Header=BB14_7 Depth=1
	s_or_b32 exec_lo, exec_lo, s0
	ds_bpermute_b32 v6, v25, v30
	s_waitcnt lgkmcnt(0)
	buffer_gl0_inv
	v_min_i32_e32 v6, v6, v30
	ds_bpermute_b32 v7, v26, v6
	s_waitcnt lgkmcnt(0)
	v_min_i32_e32 v6, v7, v6
	ds_bpermute_b32 v7, v27, v6
	s_waitcnt lgkmcnt(0)
	;; [unrolled: 3-line block ×6, first 2 shown]
	v_cmp_le_i32_e64 s0, s9, v6
	v_ashrrev_i32_e32 v7, 31, v6
	s_or_b32 s7, s0, s7
	s_andn2_b32 exec_lo, exec_lo, s7
	s_cbranch_execz .LBB14_17
.LBB14_7:                               ; =>This Loop Header: Depth=1
                                        ;     Child Loop BB14_10 Depth 2
	v_add_co_u32 v4, s0, v4, v0
	v_mov_b32_e32 v11, v3
	v_add_co_ci_u32_e64 v5, null, 0, v5, s0
	v_mov_b32_e32 v30, s9
	v_mov_b32_e32 v10, v2
	s_mov_b32 s12, exec_lo
	ds_write_b8 v17, v19 offset:16
	s_waitcnt lgkmcnt(0)
	buffer_gl0_inv
	v_cmpx_lt_i64_e64 v[4:5], v[2:3]
	s_cbranch_execz .LBB14_15
; %bb.8:                                ;   in Loop: Header=BB14_7 Depth=1
	v_lshlrev_b64 v[8:9], 2, v[4:5]
	v_mov_b32_e32 v11, v3
	v_mov_b32_e32 v30, s9
	;; [unrolled: 1-line block ×3, first 2 shown]
	s_mov_b32 s13, 0
	v_add_co_u32 v8, s0, s2, v8
	v_add_co_ci_u32_e64 v9, null, s3, v9, s0
	s_branch .LBB14_10
.LBB14_9:                               ;   in Loop: Header=BB14_10 Depth=2
	s_or_b32 exec_lo, exec_lo, s1
	v_add_co_u32 v4, s1, v4, 8
	v_add_co_ci_u32_e64 v5, null, 0, v5, s1
	s_xor_b32 s0, s0, -1
	v_cmp_ge_i64_e64 s1, v[4:5], v[2:3]
	s_or_b32 s1, s0, s1
	v_add_co_u32 v8, s0, v8, 32
	v_add_co_ci_u32_e64 v9, null, 0, v9, s0
	s_and_b32 s0, exec_lo, s1
	s_or_b32 s13, s0, s13
	s_andn2_b32 exec_lo, exec_lo, s13
	s_cbranch_execz .LBB14_14
.LBB14_10:                              ;   Parent Loop BB14_7 Depth=1
                                        ; =>  This Inner Loop Header: Depth=2
	global_load_dword v12, v[8:9], off
	s_waitcnt vmcnt(0)
	v_subrev_nc_u32_e32 v12, s11, v12
	v_sub_nc_u32_e32 v13, 0, v12
	v_max_i32_e32 v13, v12, v13
	v_ashrrev_i32_e32 v12, 31, v12
	v_mul_hi_u32 v14, v13, v28
	v_xor_b32_e32 v12, s10, v12
	v_mul_lo_u32 v15, v14, s6
	v_sub_nc_u32_e32 v13, v13, v15
	v_add_nc_u32_e32 v15, 1, v14
	v_subrev_nc_u32_e32 v31, s6, v13
	v_cmp_le_u32_e64 s0, s6, v13
	v_cndmask_b32_e64 v14, v14, v15, s0
	v_cndmask_b32_e64 v13, v13, v31, s0
	v_add_nc_u32_e32 v15, 1, v14
	v_cmp_le_u32_e64 s0, s6, v13
	v_cndmask_b32_e64 v13, v14, v15, s0
	v_xor_b32_e32 v13, v13, v12
	v_sub_nc_u32_e32 v14, v13, v12
	v_mov_b32_e32 v13, v11
	v_mov_b32_e32 v12, v10
	v_ashrrev_i32_e32 v15, 31, v14
	v_cmp_eq_u64_e64 s0, v[6:7], v[14:15]
	v_cmp_ne_u64_e64 s1, v[6:7], v[14:15]
	s_and_saveexec_b32 s14, s1
	s_xor_b32 s1, exec_lo, s14
; %bb.11:                               ;   in Loop: Header=BB14_10 Depth=2
	v_min_i32_e32 v30, v14, v30
                                        ; implicit-def: $vgpr12_vgpr13
; %bb.12:                               ;   in Loop: Header=BB14_10 Depth=2
	s_or_saveexec_b32 s1, s1
	v_mov_b32_e32 v11, v5
	v_mov_b32_e32 v10, v4
	s_xor_b32 exec_lo, exec_lo, s1
	s_cbranch_execz .LBB14_9
; %bb.13:                               ;   in Loop: Header=BB14_10 Depth=2
	v_mov_b32_e32 v10, v12
	v_mov_b32_e32 v11, v13
	ds_write_b8 v17, v29 offset:16
	s_branch .LBB14_9
.LBB14_14:                              ;   in Loop: Header=BB14_7 Depth=1
	s_or_b32 exec_lo, exec_lo, s13
.LBB14_15:                              ;   in Loop: Header=BB14_7 Depth=1
	s_or_b32 exec_lo, exec_lo, s12
	ds_bpermute_b32 v4, v22, v10
	ds_bpermute_b32 v5, v22, v11
	s_waitcnt lgkmcnt(0)
	buffer_gl0_inv
	ds_read_u8 v8, v17 offset:16
	v_cmp_lt_i64_e64 s0, v[4:5], v[10:11]
	v_cndmask_b32_e64 v5, v11, v5, s0
	v_cndmask_b32_e64 v4, v10, v4, s0
	ds_bpermute_b32 v7, v23, v5
	ds_bpermute_b32 v6, v23, v4
	s_waitcnt lgkmcnt(0)
	v_cmp_lt_i64_e64 s0, v[6:7], v[4:5]
	v_cndmask_b32_e64 v5, v5, v7, s0
	v_cndmask_b32_e64 v4, v4, v6, s0
	ds_bpermute_b32 v7, v24, v5
	ds_bpermute_b32 v6, v24, v4
	s_waitcnt lgkmcnt(0)
	v_cmp_lt_i64_e64 s0, v[6:7], v[4:5]
	v_cndmask_b32_e64 v5, v5, v7, s0
	v_cndmask_b32_e64 v4, v4, v6, s0
	v_and_b32_e32 v6, 1, v8
	ds_bpermute_b32 v5, v21, v5
	ds_bpermute_b32 v4, v21, v4
	v_cmp_eq_u32_e64 s0, 1, v6
	s_and_b32 s1, vcc_lo, s0
	s_and_saveexec_b32 s0, s1
	s_cbranch_execz .LBB14_6
; %bb.16:                               ;   in Loop: Header=BB14_7 Depth=1
	ds_read_b32 v6, v16
	s_waitcnt lgkmcnt(0)
	v_add_nc_u32_e32 v6, 1, v6
	ds_write_b32 v16, v6
	s_branch .LBB14_6
.LBB14_17:
	s_or_b32 exec_lo, exec_lo, s7
.LBB14_18:
	s_mov_b32 s0, exec_lo
	v_cmpx_eq_u32_e32 0, v18
	s_cbranch_execz .LBB14_21
; %bb.19:
	s_clause 0x1
	s_load_dword s2, s[4:5], 0x28
	s_load_dwordx2 s[0:1], s[4:5], 0x30
	v_mov_b32_e32 v3, 0
	v_cmp_gt_u32_e32 vcc_lo, s8, v1
	s_waitcnt lgkmcnt(0)
	v_mov_b32_e32 v2, s2
	global_store_dwordx2 v3, v[2:3], s[0:1]
	s_and_b32 exec_lo, exec_lo, vcc_lo
	s_cbranch_execz .LBB14_21
; %bb.20:
	ds_read_b32 v0, v16
	v_mov_b32_e32 v2, v3
	v_lshlrev_b64 v[1:2], 3, v[1:2]
	v_add_co_u32 v3, vcc_lo, s0, v1
	v_add_co_ci_u32_e64 v4, null, s1, v2, vcc_lo
	s_waitcnt lgkmcnt(0)
	v_ashrrev_i32_e32 v1, 31, v0
	global_store_dwordx2 v[3:4], v[0:1], off offset:8
.LBB14_21:
	s_endpgm
	.section	.rodata,"a",@progbits
	.p2align	6, 0x0
	.amdhsa_kernel _ZN9rocsparseL46csr2bsr_nnz_wavefront_per_row_multipass_kernelILj256ELj64ELj8EliEEvT3_S1_S1_S1_S1_21rocsparse_index_base_PKT2_PKS1_S2_PS3_
		.amdhsa_group_segment_fixed_size 20
		.amdhsa_private_segment_fixed_size 0
		.amdhsa_kernarg_size 56
		.amdhsa_user_sgpr_count 6
		.amdhsa_user_sgpr_private_segment_buffer 1
		.amdhsa_user_sgpr_dispatch_ptr 0
		.amdhsa_user_sgpr_queue_ptr 0
		.amdhsa_user_sgpr_kernarg_segment_ptr 1
		.amdhsa_user_sgpr_dispatch_id 0
		.amdhsa_user_sgpr_flat_scratch_init 0
		.amdhsa_user_sgpr_private_segment_size 0
		.amdhsa_wavefront_size32 1
		.amdhsa_uses_dynamic_stack 0
		.amdhsa_system_sgpr_private_segment_wavefront_offset 0
		.amdhsa_system_sgpr_workgroup_id_x 1
		.amdhsa_system_sgpr_workgroup_id_y 0
		.amdhsa_system_sgpr_workgroup_id_z 0
		.amdhsa_system_sgpr_workgroup_info 0
		.amdhsa_system_vgpr_workitem_id 0
		.amdhsa_next_free_vgpr 32
		.amdhsa_next_free_sgpr 15
		.amdhsa_reserve_vcc 1
		.amdhsa_reserve_flat_scratch 0
		.amdhsa_float_round_mode_32 0
		.amdhsa_float_round_mode_16_64 0
		.amdhsa_float_denorm_mode_32 3
		.amdhsa_float_denorm_mode_16_64 3
		.amdhsa_dx10_clamp 1
		.amdhsa_ieee_mode 1
		.amdhsa_fp16_overflow 0
		.amdhsa_workgroup_processor_mode 1
		.amdhsa_memory_ordered 1
		.amdhsa_forward_progress 1
		.amdhsa_shared_vgpr_count 0
		.amdhsa_exception_fp_ieee_invalid_op 0
		.amdhsa_exception_fp_denorm_src 0
		.amdhsa_exception_fp_ieee_div_zero 0
		.amdhsa_exception_fp_ieee_overflow 0
		.amdhsa_exception_fp_ieee_underflow 0
		.amdhsa_exception_fp_ieee_inexact 0
		.amdhsa_exception_int_div_zero 0
	.end_amdhsa_kernel
	.section	.text._ZN9rocsparseL46csr2bsr_nnz_wavefront_per_row_multipass_kernelILj256ELj64ELj8EliEEvT3_S1_S1_S1_S1_21rocsparse_index_base_PKT2_PKS1_S2_PS3_,"axG",@progbits,_ZN9rocsparseL46csr2bsr_nnz_wavefront_per_row_multipass_kernelILj256ELj64ELj8EliEEvT3_S1_S1_S1_S1_21rocsparse_index_base_PKT2_PKS1_S2_PS3_,comdat
.Lfunc_end14:
	.size	_ZN9rocsparseL46csr2bsr_nnz_wavefront_per_row_multipass_kernelILj256ELj64ELj8EliEEvT3_S1_S1_S1_S1_21rocsparse_index_base_PKT2_PKS1_S2_PS3_, .Lfunc_end14-_ZN9rocsparseL46csr2bsr_nnz_wavefront_per_row_multipass_kernelILj256ELj64ELj8EliEEvT3_S1_S1_S1_S1_21rocsparse_index_base_PKT2_PKS1_S2_PS3_
                                        ; -- End function
	.set _ZN9rocsparseL46csr2bsr_nnz_wavefront_per_row_multipass_kernelILj256ELj64ELj8EliEEvT3_S1_S1_S1_S1_21rocsparse_index_base_PKT2_PKS1_S2_PS3_.num_vgpr, 32
	.set _ZN9rocsparseL46csr2bsr_nnz_wavefront_per_row_multipass_kernelILj256ELj64ELj8EliEEvT3_S1_S1_S1_S1_21rocsparse_index_base_PKT2_PKS1_S2_PS3_.num_agpr, 0
	.set _ZN9rocsparseL46csr2bsr_nnz_wavefront_per_row_multipass_kernelILj256ELj64ELj8EliEEvT3_S1_S1_S1_S1_21rocsparse_index_base_PKT2_PKS1_S2_PS3_.numbered_sgpr, 15
	.set _ZN9rocsparseL46csr2bsr_nnz_wavefront_per_row_multipass_kernelILj256ELj64ELj8EliEEvT3_S1_S1_S1_S1_21rocsparse_index_base_PKT2_PKS1_S2_PS3_.num_named_barrier, 0
	.set _ZN9rocsparseL46csr2bsr_nnz_wavefront_per_row_multipass_kernelILj256ELj64ELj8EliEEvT3_S1_S1_S1_S1_21rocsparse_index_base_PKT2_PKS1_S2_PS3_.private_seg_size, 0
	.set _ZN9rocsparseL46csr2bsr_nnz_wavefront_per_row_multipass_kernelILj256ELj64ELj8EliEEvT3_S1_S1_S1_S1_21rocsparse_index_base_PKT2_PKS1_S2_PS3_.uses_vcc, 1
	.set _ZN9rocsparseL46csr2bsr_nnz_wavefront_per_row_multipass_kernelILj256ELj64ELj8EliEEvT3_S1_S1_S1_S1_21rocsparse_index_base_PKT2_PKS1_S2_PS3_.uses_flat_scratch, 0
	.set _ZN9rocsparseL46csr2bsr_nnz_wavefront_per_row_multipass_kernelILj256ELj64ELj8EliEEvT3_S1_S1_S1_S1_21rocsparse_index_base_PKT2_PKS1_S2_PS3_.has_dyn_sized_stack, 0
	.set _ZN9rocsparseL46csr2bsr_nnz_wavefront_per_row_multipass_kernelILj256ELj64ELj8EliEEvT3_S1_S1_S1_S1_21rocsparse_index_base_PKT2_PKS1_S2_PS3_.has_recursion, 0
	.set _ZN9rocsparseL46csr2bsr_nnz_wavefront_per_row_multipass_kernelILj256ELj64ELj8EliEEvT3_S1_S1_S1_S1_21rocsparse_index_base_PKT2_PKS1_S2_PS3_.has_indirect_call, 0
	.section	.AMDGPU.csdata,"",@progbits
; Kernel info:
; codeLenInByte = 1388
; TotalNumSgprs: 17
; NumVgprs: 32
; ScratchSize: 0
; MemoryBound: 0
; FloatMode: 240
; IeeeMode: 1
; LDSByteSize: 20 bytes/workgroup (compile time only)
; SGPRBlocks: 0
; VGPRBlocks: 3
; NumSGPRsForWavesPerEU: 17
; NumVGPRsForWavesPerEU: 32
; Occupancy: 16
; WaveLimiterHint : 0
; COMPUTE_PGM_RSRC2:SCRATCH_EN: 0
; COMPUTE_PGM_RSRC2:USER_SGPR: 6
; COMPUTE_PGM_RSRC2:TRAP_HANDLER: 0
; COMPUTE_PGM_RSRC2:TGID_X_EN: 1
; COMPUTE_PGM_RSRC2:TGID_Y_EN: 0
; COMPUTE_PGM_RSRC2:TGID_Z_EN: 0
; COMPUTE_PGM_RSRC2:TIDIG_COMP_CNT: 0
	.section	.text._ZN9rocsparseL46csr2bsr_nnz_wavefront_per_row_multipass_kernelILj256ELj32ELj8EliEEvT3_S1_S1_S1_S1_21rocsparse_index_base_PKT2_PKS1_S2_PS3_,"axG",@progbits,_ZN9rocsparseL46csr2bsr_nnz_wavefront_per_row_multipass_kernelILj256ELj32ELj8EliEEvT3_S1_S1_S1_S1_21rocsparse_index_base_PKT2_PKS1_S2_PS3_,comdat
	.globl	_ZN9rocsparseL46csr2bsr_nnz_wavefront_per_row_multipass_kernelILj256ELj32ELj8EliEEvT3_S1_S1_S1_S1_21rocsparse_index_base_PKT2_PKS1_S2_PS3_ ; -- Begin function _ZN9rocsparseL46csr2bsr_nnz_wavefront_per_row_multipass_kernelILj256ELj32ELj8EliEEvT3_S1_S1_S1_S1_21rocsparse_index_base_PKT2_PKS1_S2_PS3_
	.p2align	8
	.type	_ZN9rocsparseL46csr2bsr_nnz_wavefront_per_row_multipass_kernelILj256ELj32ELj8EliEEvT3_S1_S1_S1_S1_21rocsparse_index_base_PKT2_PKS1_S2_PS3_,@function
_ZN9rocsparseL46csr2bsr_nnz_wavefront_per_row_multipass_kernelILj256ELj32ELj8EliEEvT3_S1_S1_S1_S1_21rocsparse_index_base_PKT2_PKS1_S2_PS3_: ; @_ZN9rocsparseL46csr2bsr_nnz_wavefront_per_row_multipass_kernelILj256ELj32ELj8EliEEvT3_S1_S1_S1_S1_21rocsparse_index_base_PKT2_PKS1_S2_PS3_
; %bb.0:
	s_clause 0x1
	s_load_dwordx4 s[8:11], s[4:5], 0x8
	s_load_dword s0, s[4:5], 0x0
	v_lshrrev_b32_e32 v17, 5, v0
	v_bfe_u32 v2, v0, 2, 3
	s_load_dwordx2 s[2:3], s[4:5], 0x18
	v_mov_b32_e32 v6, 0
	v_mov_b32_e32 v7, 0
	v_lshl_or_b32 v1, s6, 3, v17
	v_lshlrev_b32_e32 v16, 2, v17
	s_waitcnt lgkmcnt(0)
	v_mad_u64_u32 v[4:5], null, v1, s10, v[2:3]
	v_cmp_gt_i32_e32 vcc_lo, s10, v2
	v_mov_b32_e32 v2, 0
	v_mov_b32_e32 v5, 0
	;; [unrolled: 1-line block ×3, first 2 shown]
	v_cmp_gt_i32_e64 s0, s0, v4
	ds_write_b32 v16, v5
	s_waitcnt lgkmcnt(0)
	s_barrier
	buffer_gl0_inv
	s_and_b32 s0, vcc_lo, s0
	s_and_saveexec_b32 s1, s0
	s_cbranch_execz .LBB15_2
; %bb.1:
	v_ashrrev_i32_e32 v5, 31, v4
	v_lshlrev_b64 v[5:6], 3, v[4:5]
	v_add_co_u32 v5, vcc_lo, s2, v5
	v_add_co_ci_u32_e64 v6, null, s3, v6, vcc_lo
	global_load_dwordx2 v[6:7], v[5:6], off
	s_waitcnt vmcnt(0)
	v_sub_co_u32 v6, vcc_lo, v6, s11
	v_subrev_co_ci_u32_e64 v7, null, 0, v7, vcc_lo
.LBB15_2:
	s_or_b32 exec_lo, exec_lo, s1
	s_and_saveexec_b32 s1, s0
	s_cbranch_execz .LBB15_4
; %bb.3:
	v_ashrrev_i32_e32 v5, 31, v4
	v_lshlrev_b64 v[2:3], 3, v[4:5]
	v_add_co_u32 v2, vcc_lo, s2, v2
	v_add_co_ci_u32_e64 v3, null, s3, v3, vcc_lo
	global_load_dwordx2 v[2:3], v[2:3], off offset:8
	s_waitcnt vmcnt(0)
	v_sub_co_u32 v2, vcc_lo, v2, s11
	v_subrev_co_ci_u32_e64 v3, null, 0, v3, vcc_lo
.LBB15_4:
	s_or_b32 exec_lo, exec_lo, s1
	v_and_b32_e32 v18, 31, v0
	s_cmp_lt_i32 s9, 1
	v_cmp_eq_u32_e32 vcc_lo, 0, v18
	s_cbranch_scc1 .LBB15_18
; %bb.5:
	s_abs_i32 s6, s10
	v_mbcnt_lo_u32_b32 v8, -1, 0
	v_cvt_f32_u32_e32 v4, s6
	s_sub_i32 s0, 0, s6
	s_load_dwordx2 s[2:3], s[4:5], 0x20
	v_and_b32_e32 v0, 3, v0
	v_xor_b32_e32 v10, 2, v8
	v_rcp_iflag_f32_e32 v4, v4
	v_xor_b32_e32 v11, 1, v8
	v_xor_b32_e32 v12, 16, v8
	;; [unrolled: 1-line block ×4, first 2 shown]
	v_lshl_or_b32 v21, v8, 2, 12
	v_mov_b32_e32 v19, 0
	v_mov_b32_e32 v20, 0x7c
	;; [unrolled: 1-line block ×3, first 2 shown]
	s_mov_b32 s7, 0
	v_mul_f32_e32 v9, 0x4f7ffffe, v4
	v_mov_b32_e32 v4, 0
	v_mov_b32_e32 v5, 0
	s_ashr_i32 s10, s10, 31
	v_cvt_u32_f32_e32 v9, v9
	v_mul_lo_u32 v15, s0, v9
	v_cmp_gt_i32_e64 s0, 32, v10
	v_cndmask_b32_e64 v10, v8, v10, s0
	v_cmp_gt_i32_e64 s0, 32, v11
	v_mul_hi_u32 v15, v9, v15
	v_lshlrev_b32_e32 v22, 2, v10
	v_cndmask_b32_e64 v11, v8, v11, s0
	v_cmp_gt_i32_e64 s0, 32, v12
	v_add_nc_u32_e32 v27, v9, v15
	v_lshlrev_b32_e32 v23, 2, v11
	v_cndmask_b32_e64 v12, v8, v12, s0
	v_cmp_gt_i32_e64 s0, 32, v13
	v_lshlrev_b32_e32 v24, 2, v12
	v_cndmask_b32_e64 v13, v8, v13, s0
	v_cmp_gt_i32_e64 s0, 32, v14
	v_lshlrev_b32_e32 v25, 2, v13
	v_cndmask_b32_e64 v8, v8, v14, s0
	v_lshlrev_b32_e32 v26, 2, v8
	s_branch .LBB15_7
.LBB15_6:                               ;   in Loop: Header=BB15_7 Depth=1
	s_or_b32 exec_lo, exec_lo, s0
	ds_bpermute_b32 v4, v24, v29
	s_waitcnt lgkmcnt(0)
	buffer_gl0_inv
	v_min_i32_e32 v4, v4, v29
	ds_bpermute_b32 v5, v25, v4
	s_waitcnt lgkmcnt(0)
	v_min_i32_e32 v4, v5, v4
	ds_bpermute_b32 v5, v26, v4
	s_waitcnt lgkmcnt(0)
	v_min_i32_e32 v4, v5, v4
	ds_bpermute_b32 v5, v22, v4
	s_waitcnt lgkmcnt(0)
	v_min_i32_e32 v4, v5, v4
	ds_bpermute_b32 v5, v23, v4
	s_waitcnt lgkmcnt(0)
	v_min_i32_e32 v4, v5, v4
	ds_bpermute_b32 v4, v20, v4
	s_waitcnt lgkmcnt(0)
	v_cmp_le_i32_e64 s0, s9, v4
	v_ashrrev_i32_e32 v5, 31, v4
	s_or_b32 s7, s0, s7
	s_andn2_b32 exec_lo, exec_lo, s7
	s_cbranch_execz .LBB15_17
.LBB15_7:                               ; =>This Loop Header: Depth=1
                                        ;     Child Loop BB15_10 Depth 2
	v_add_co_u32 v6, s0, v6, v0
	v_mov_b32_e32 v11, v3
	v_add_co_ci_u32_e64 v7, null, 0, v7, s0
	v_mov_b32_e32 v29, s9
	v_mov_b32_e32 v10, v2
	s_mov_b32 s12, exec_lo
	ds_write_b8 v17, v19 offset:32
	s_waitcnt lgkmcnt(0)
	buffer_gl0_inv
	v_cmpx_lt_i64_e64 v[6:7], v[2:3]
	s_cbranch_execz .LBB15_15
; %bb.8:                                ;   in Loop: Header=BB15_7 Depth=1
	v_lshlrev_b64 v[8:9], 2, v[6:7]
	v_mov_b32_e32 v11, v3
	v_mov_b32_e32 v29, s9
	;; [unrolled: 1-line block ×3, first 2 shown]
	s_mov_b32 s13, 0
	v_add_co_u32 v8, s0, s2, v8
	v_add_co_ci_u32_e64 v9, null, s3, v9, s0
	s_branch .LBB15_10
.LBB15_9:                               ;   in Loop: Header=BB15_10 Depth=2
	s_or_b32 exec_lo, exec_lo, s1
	v_add_co_u32 v6, s1, v6, 4
	v_add_co_ci_u32_e64 v7, null, 0, v7, s1
	s_xor_b32 s0, s0, -1
	v_cmp_ge_i64_e64 s1, v[6:7], v[2:3]
	s_or_b32 s1, s0, s1
	v_add_co_u32 v8, s0, v8, 16
	v_add_co_ci_u32_e64 v9, null, 0, v9, s0
	s_and_b32 s0, exec_lo, s1
	s_or_b32 s13, s0, s13
	s_andn2_b32 exec_lo, exec_lo, s13
	s_cbranch_execz .LBB15_14
.LBB15_10:                              ;   Parent Loop BB15_7 Depth=1
                                        ; =>  This Inner Loop Header: Depth=2
	global_load_dword v12, v[8:9], off
	s_waitcnt vmcnt(0)
	v_subrev_nc_u32_e32 v12, s11, v12
	v_sub_nc_u32_e32 v13, 0, v12
	v_max_i32_e32 v13, v12, v13
	v_ashrrev_i32_e32 v12, 31, v12
	v_mul_hi_u32 v14, v13, v27
	v_xor_b32_e32 v12, s10, v12
	v_mul_lo_u32 v15, v14, s6
	v_sub_nc_u32_e32 v13, v13, v15
	v_add_nc_u32_e32 v15, 1, v14
	v_subrev_nc_u32_e32 v30, s6, v13
	v_cmp_le_u32_e64 s0, s6, v13
	v_cndmask_b32_e64 v14, v14, v15, s0
	v_cndmask_b32_e64 v13, v13, v30, s0
	v_add_nc_u32_e32 v15, 1, v14
	v_cmp_le_u32_e64 s0, s6, v13
	v_cndmask_b32_e64 v13, v14, v15, s0
	v_xor_b32_e32 v13, v13, v12
	v_sub_nc_u32_e32 v14, v13, v12
	v_mov_b32_e32 v13, v11
	v_mov_b32_e32 v12, v10
	v_ashrrev_i32_e32 v15, 31, v14
	v_cmp_eq_u64_e64 s0, v[4:5], v[14:15]
	v_cmp_ne_u64_e64 s1, v[4:5], v[14:15]
	s_and_saveexec_b32 s14, s1
	s_xor_b32 s1, exec_lo, s14
; %bb.11:                               ;   in Loop: Header=BB15_10 Depth=2
	v_min_i32_e32 v29, v14, v29
                                        ; implicit-def: $vgpr12_vgpr13
; %bb.12:                               ;   in Loop: Header=BB15_10 Depth=2
	s_or_saveexec_b32 s1, s1
	v_mov_b32_e32 v11, v7
	v_mov_b32_e32 v10, v6
	s_xor_b32 exec_lo, exec_lo, s1
	s_cbranch_execz .LBB15_9
; %bb.13:                               ;   in Loop: Header=BB15_10 Depth=2
	v_mov_b32_e32 v10, v12
	v_mov_b32_e32 v11, v13
	ds_write_b8 v17, v28 offset:32
	s_branch .LBB15_9
.LBB15_14:                              ;   in Loop: Header=BB15_7 Depth=1
	s_or_b32 exec_lo, exec_lo, s13
.LBB15_15:                              ;   in Loop: Header=BB15_7 Depth=1
	s_or_b32 exec_lo, exec_lo, s12
	ds_bpermute_b32 v4, v22, v10
	ds_bpermute_b32 v5, v22, v11
	s_waitcnt lgkmcnt(0)
	buffer_gl0_inv
	ds_read_u8 v8, v17 offset:32
	v_cmp_lt_i64_e64 s0, v[4:5], v[10:11]
	v_cndmask_b32_e64 v5, v11, v5, s0
	v_cndmask_b32_e64 v4, v10, v4, s0
	ds_bpermute_b32 v7, v23, v5
	ds_bpermute_b32 v6, v23, v4
	s_waitcnt lgkmcnt(0)
	v_cmp_lt_i64_e64 s0, v[6:7], v[4:5]
	v_cndmask_b32_e64 v5, v5, v7, s0
	v_cndmask_b32_e64 v4, v4, v6, s0
	ds_bpermute_b32 v7, v21, v5
	ds_bpermute_b32 v6, v21, v4
	v_and_b32_e32 v4, 1, v8
	v_cmp_eq_u32_e64 s0, 1, v4
	s_and_b32 s1, vcc_lo, s0
	s_and_saveexec_b32 s0, s1
	s_cbranch_execz .LBB15_6
; %bb.16:                               ;   in Loop: Header=BB15_7 Depth=1
	ds_read_b32 v4, v16
	s_waitcnt lgkmcnt(0)
	v_add_nc_u32_e32 v4, 1, v4
	ds_write_b32 v16, v4
	s_branch .LBB15_6
.LBB15_17:
	s_or_b32 exec_lo, exec_lo, s7
.LBB15_18:
	s_mov_b32 s0, exec_lo
	v_cmpx_eq_u32_e32 0, v18
	s_cbranch_execz .LBB15_21
; %bb.19:
	s_clause 0x1
	s_load_dword s2, s[4:5], 0x28
	s_load_dwordx2 s[0:1], s[4:5], 0x30
	v_mov_b32_e32 v3, 0
	v_cmp_gt_u32_e32 vcc_lo, s8, v1
	s_waitcnt lgkmcnt(0)
	v_mov_b32_e32 v2, s2
	global_store_dwordx2 v3, v[2:3], s[0:1]
	s_and_b32 exec_lo, exec_lo, vcc_lo
	s_cbranch_execz .LBB15_21
; %bb.20:
	ds_read_b32 v0, v16
	v_mov_b32_e32 v2, v3
	v_lshlrev_b64 v[1:2], 3, v[1:2]
	v_add_co_u32 v3, vcc_lo, s0, v1
	v_add_co_ci_u32_e64 v4, null, s1, v2, vcc_lo
	s_waitcnt lgkmcnt(0)
	v_ashrrev_i32_e32 v1, 31, v0
	global_store_dwordx2 v[3:4], v[0:1], off offset:8
.LBB15_21:
	s_endpgm
	.section	.rodata,"a",@progbits
	.p2align	6, 0x0
	.amdhsa_kernel _ZN9rocsparseL46csr2bsr_nnz_wavefront_per_row_multipass_kernelILj256ELj32ELj8EliEEvT3_S1_S1_S1_S1_21rocsparse_index_base_PKT2_PKS1_S2_PS3_
		.amdhsa_group_segment_fixed_size 40
		.amdhsa_private_segment_fixed_size 0
		.amdhsa_kernarg_size 56
		.amdhsa_user_sgpr_count 6
		.amdhsa_user_sgpr_private_segment_buffer 1
		.amdhsa_user_sgpr_dispatch_ptr 0
		.amdhsa_user_sgpr_queue_ptr 0
		.amdhsa_user_sgpr_kernarg_segment_ptr 1
		.amdhsa_user_sgpr_dispatch_id 0
		.amdhsa_user_sgpr_flat_scratch_init 0
		.amdhsa_user_sgpr_private_segment_size 0
		.amdhsa_wavefront_size32 1
		.amdhsa_uses_dynamic_stack 0
		.amdhsa_system_sgpr_private_segment_wavefront_offset 0
		.amdhsa_system_sgpr_workgroup_id_x 1
		.amdhsa_system_sgpr_workgroup_id_y 0
		.amdhsa_system_sgpr_workgroup_id_z 0
		.amdhsa_system_sgpr_workgroup_info 0
		.amdhsa_system_vgpr_workitem_id 0
		.amdhsa_next_free_vgpr 31
		.amdhsa_next_free_sgpr 15
		.amdhsa_reserve_vcc 1
		.amdhsa_reserve_flat_scratch 0
		.amdhsa_float_round_mode_32 0
		.amdhsa_float_round_mode_16_64 0
		.amdhsa_float_denorm_mode_32 3
		.amdhsa_float_denorm_mode_16_64 3
		.amdhsa_dx10_clamp 1
		.amdhsa_ieee_mode 1
		.amdhsa_fp16_overflow 0
		.amdhsa_workgroup_processor_mode 1
		.amdhsa_memory_ordered 1
		.amdhsa_forward_progress 1
		.amdhsa_shared_vgpr_count 0
		.amdhsa_exception_fp_ieee_invalid_op 0
		.amdhsa_exception_fp_denorm_src 0
		.amdhsa_exception_fp_ieee_div_zero 0
		.amdhsa_exception_fp_ieee_overflow 0
		.amdhsa_exception_fp_ieee_underflow 0
		.amdhsa_exception_fp_ieee_inexact 0
		.amdhsa_exception_int_div_zero 0
	.end_amdhsa_kernel
	.section	.text._ZN9rocsparseL46csr2bsr_nnz_wavefront_per_row_multipass_kernelILj256ELj32ELj8EliEEvT3_S1_S1_S1_S1_21rocsparse_index_base_PKT2_PKS1_S2_PS3_,"axG",@progbits,_ZN9rocsparseL46csr2bsr_nnz_wavefront_per_row_multipass_kernelILj256ELj32ELj8EliEEvT3_S1_S1_S1_S1_21rocsparse_index_base_PKT2_PKS1_S2_PS3_,comdat
.Lfunc_end15:
	.size	_ZN9rocsparseL46csr2bsr_nnz_wavefront_per_row_multipass_kernelILj256ELj32ELj8EliEEvT3_S1_S1_S1_S1_21rocsparse_index_base_PKT2_PKS1_S2_PS3_, .Lfunc_end15-_ZN9rocsparseL46csr2bsr_nnz_wavefront_per_row_multipass_kernelILj256ELj32ELj8EliEEvT3_S1_S1_S1_S1_21rocsparse_index_base_PKT2_PKS1_S2_PS3_
                                        ; -- End function
	.set _ZN9rocsparseL46csr2bsr_nnz_wavefront_per_row_multipass_kernelILj256ELj32ELj8EliEEvT3_S1_S1_S1_S1_21rocsparse_index_base_PKT2_PKS1_S2_PS3_.num_vgpr, 31
	.set _ZN9rocsparseL46csr2bsr_nnz_wavefront_per_row_multipass_kernelILj256ELj32ELj8EliEEvT3_S1_S1_S1_S1_21rocsparse_index_base_PKT2_PKS1_S2_PS3_.num_agpr, 0
	.set _ZN9rocsparseL46csr2bsr_nnz_wavefront_per_row_multipass_kernelILj256ELj32ELj8EliEEvT3_S1_S1_S1_S1_21rocsparse_index_base_PKT2_PKS1_S2_PS3_.numbered_sgpr, 15
	.set _ZN9rocsparseL46csr2bsr_nnz_wavefront_per_row_multipass_kernelILj256ELj32ELj8EliEEvT3_S1_S1_S1_S1_21rocsparse_index_base_PKT2_PKS1_S2_PS3_.num_named_barrier, 0
	.set _ZN9rocsparseL46csr2bsr_nnz_wavefront_per_row_multipass_kernelILj256ELj32ELj8EliEEvT3_S1_S1_S1_S1_21rocsparse_index_base_PKT2_PKS1_S2_PS3_.private_seg_size, 0
	.set _ZN9rocsparseL46csr2bsr_nnz_wavefront_per_row_multipass_kernelILj256ELj32ELj8EliEEvT3_S1_S1_S1_S1_21rocsparse_index_base_PKT2_PKS1_S2_PS3_.uses_vcc, 1
	.set _ZN9rocsparseL46csr2bsr_nnz_wavefront_per_row_multipass_kernelILj256ELj32ELj8EliEEvT3_S1_S1_S1_S1_21rocsparse_index_base_PKT2_PKS1_S2_PS3_.uses_flat_scratch, 0
	.set _ZN9rocsparseL46csr2bsr_nnz_wavefront_per_row_multipass_kernelILj256ELj32ELj8EliEEvT3_S1_S1_S1_S1_21rocsparse_index_base_PKT2_PKS1_S2_PS3_.has_dyn_sized_stack, 0
	.set _ZN9rocsparseL46csr2bsr_nnz_wavefront_per_row_multipass_kernelILj256ELj32ELj8EliEEvT3_S1_S1_S1_S1_21rocsparse_index_base_PKT2_PKS1_S2_PS3_.has_recursion, 0
	.set _ZN9rocsparseL46csr2bsr_nnz_wavefront_per_row_multipass_kernelILj256ELj32ELj8EliEEvT3_S1_S1_S1_S1_21rocsparse_index_base_PKT2_PKS1_S2_PS3_.has_indirect_call, 0
	.section	.AMDGPU.csdata,"",@progbits
; Kernel info:
; codeLenInByte = 1308
; TotalNumSgprs: 17
; NumVgprs: 31
; ScratchSize: 0
; MemoryBound: 0
; FloatMode: 240
; IeeeMode: 1
; LDSByteSize: 40 bytes/workgroup (compile time only)
; SGPRBlocks: 0
; VGPRBlocks: 3
; NumSGPRsForWavesPerEU: 17
; NumVGPRsForWavesPerEU: 31
; Occupancy: 16
; WaveLimiterHint : 0
; COMPUTE_PGM_RSRC2:SCRATCH_EN: 0
; COMPUTE_PGM_RSRC2:USER_SGPR: 6
; COMPUTE_PGM_RSRC2:TRAP_HANDLER: 0
; COMPUTE_PGM_RSRC2:TGID_X_EN: 1
; COMPUTE_PGM_RSRC2:TGID_Y_EN: 0
; COMPUTE_PGM_RSRC2:TGID_Z_EN: 0
; COMPUTE_PGM_RSRC2:TIDIG_COMP_CNT: 0
	.section	.text._ZN9rocsparseL46csr2bsr_nnz_wavefront_per_row_multipass_kernelILj256ELj64ELj16EliEEvT3_S1_S1_S1_S1_21rocsparse_index_base_PKT2_PKS1_S2_PS3_,"axG",@progbits,_ZN9rocsparseL46csr2bsr_nnz_wavefront_per_row_multipass_kernelILj256ELj64ELj16EliEEvT3_S1_S1_S1_S1_21rocsparse_index_base_PKT2_PKS1_S2_PS3_,comdat
	.globl	_ZN9rocsparseL46csr2bsr_nnz_wavefront_per_row_multipass_kernelILj256ELj64ELj16EliEEvT3_S1_S1_S1_S1_21rocsparse_index_base_PKT2_PKS1_S2_PS3_ ; -- Begin function _ZN9rocsparseL46csr2bsr_nnz_wavefront_per_row_multipass_kernelILj256ELj64ELj16EliEEvT3_S1_S1_S1_S1_21rocsparse_index_base_PKT2_PKS1_S2_PS3_
	.p2align	8
	.type	_ZN9rocsparseL46csr2bsr_nnz_wavefront_per_row_multipass_kernelILj256ELj64ELj16EliEEvT3_S1_S1_S1_S1_21rocsparse_index_base_PKT2_PKS1_S2_PS3_,@function
_ZN9rocsparseL46csr2bsr_nnz_wavefront_per_row_multipass_kernelILj256ELj64ELj16EliEEvT3_S1_S1_S1_S1_21rocsparse_index_base_PKT2_PKS1_S2_PS3_: ; @_ZN9rocsparseL46csr2bsr_nnz_wavefront_per_row_multipass_kernelILj256ELj64ELj16EliEEvT3_S1_S1_S1_S1_21rocsparse_index_base_PKT2_PKS1_S2_PS3_
; %bb.0:
	s_clause 0x1
	s_load_dwordx4 s[8:11], s[4:5], 0x8
	s_load_dword s0, s[4:5], 0x0
	v_lshrrev_b32_e32 v17, 6, v0
	v_bfe_u32 v2, v0, 2, 4
	s_load_dwordx2 s[2:3], s[4:5], 0x18
	v_mov_b32_e32 v4, 0
	v_mov_b32_e32 v5, 0
	v_lshl_or_b32 v1, s6, 2, v17
	v_lshlrev_b32_e32 v16, 2, v17
	s_waitcnt lgkmcnt(0)
	v_mad_u64_u32 v[6:7], null, v1, s10, v[2:3]
	v_cmp_gt_i32_e32 vcc_lo, s10, v2
	v_mov_b32_e32 v2, 0
	v_mov_b32_e32 v7, 0
	;; [unrolled: 1-line block ×3, first 2 shown]
	v_cmp_gt_i32_e64 s0, s0, v6
	ds_write_b32 v16, v7
	s_waitcnt lgkmcnt(0)
	s_barrier
	buffer_gl0_inv
	s_and_b32 s0, vcc_lo, s0
	s_and_saveexec_b32 s1, s0
	s_cbranch_execz .LBB16_2
; %bb.1:
	v_ashrrev_i32_e32 v7, 31, v6
	v_lshlrev_b64 v[4:5], 3, v[6:7]
	v_add_co_u32 v4, vcc_lo, s2, v4
	v_add_co_ci_u32_e64 v5, null, s3, v5, vcc_lo
	global_load_dwordx2 v[4:5], v[4:5], off
	s_waitcnt vmcnt(0)
	v_sub_co_u32 v4, vcc_lo, v4, s11
	v_subrev_co_ci_u32_e64 v5, null, 0, v5, vcc_lo
.LBB16_2:
	s_or_b32 exec_lo, exec_lo, s1
	s_and_saveexec_b32 s1, s0
	s_cbranch_execz .LBB16_4
; %bb.3:
	v_ashrrev_i32_e32 v7, 31, v6
	v_lshlrev_b64 v[2:3], 3, v[6:7]
	v_add_co_u32 v2, vcc_lo, s2, v2
	v_add_co_ci_u32_e64 v3, null, s3, v3, vcc_lo
	global_load_dwordx2 v[2:3], v[2:3], off offset:8
	s_waitcnt vmcnt(0)
	v_sub_co_u32 v2, vcc_lo, v2, s11
	v_subrev_co_ci_u32_e64 v3, null, 0, v3, vcc_lo
.LBB16_4:
	s_or_b32 exec_lo, exec_lo, s1
	v_and_b32_e32 v18, 63, v0
	s_cmp_lt_i32 s9, 1
	v_cmp_eq_u32_e32 vcc_lo, 0, v18
	s_cbranch_scc1 .LBB16_18
; %bb.5:
	v_mbcnt_lo_u32_b32 v9, -1, 0
	s_abs_i32 s6, s10
	s_load_dwordx2 s[2:3], s[4:5], 0x20
	v_cvt_f32_u32_e32 v6, s6
	s_sub_i32 s1, 0, s6
	v_xor_b32_e32 v10, 2, v9
	v_xor_b32_e32 v11, 1, v9
	v_or_b32_e32 v12, 32, v9
	v_rcp_iflag_f32_e32 v8, v6
	v_xor_b32_e32 v13, 16, v9
	v_cmp_gt_i32_e64 s0, 32, v10
	v_xor_b32_e32 v14, 8, v9
	v_xor_b32_e32 v15, 4, v9
	v_lshl_or_b32 v21, v9, 2, 12
	v_mov_b32_e32 v6, 0
	v_cndmask_b32_e64 v10, v9, v10, s0
	v_cmp_gt_i32_e64 s0, 32, v11
	v_and_b32_e32 v0, 3, v0
	v_mul_f32_e32 v8, 0x4f7ffffe, v8
	v_mov_b32_e32 v19, 0
	v_bfrev_b32_e32 v20, 0.5
	v_cndmask_b32_e64 v11, v9, v11, s0
	v_cmp_gt_i32_e64 s0, 32, v12
	v_cvt_u32_f32_e32 v8, v8
	v_mov_b32_e32 v7, 0
	v_mov_b32_e32 v29, 1
	v_lshlrev_b32_e32 v23, 2, v11
	v_cndmask_b32_e64 v12, v9, v12, s0
	v_cmp_gt_i32_e64 s0, 32, v13
	v_mul_lo_u32 v22, s1, v8
	s_mov_b32 s7, 0
	s_ashr_i32 s10, s10, 31
	v_lshlrev_b32_e32 v24, 2, v12
	v_cndmask_b32_e64 v13, v9, v13, s0
	v_cmp_gt_i32_e64 s0, 32, v14
	v_mul_hi_u32 v28, v8, v22
	v_lshlrev_b32_e32 v22, 2, v10
	v_cndmask_b32_e64 v14, v9, v14, s0
	v_cmp_gt_i32_e64 s0, 32, v15
	v_lshlrev_b32_e32 v25, 2, v13
	v_lshlrev_b32_e32 v26, 2, v14
	v_cndmask_b32_e64 v9, v9, v15, s0
	v_add_nc_u32_e32 v28, v8, v28
	v_lshlrev_b32_e32 v27, 2, v9
	s_branch .LBB16_7
.LBB16_6:                               ;   in Loop: Header=BB16_7 Depth=1
	s_or_b32 exec_lo, exec_lo, s0
	ds_bpermute_b32 v6, v24, v30
	s_waitcnt lgkmcnt(0)
	buffer_gl0_inv
	v_min_i32_e32 v6, v6, v30
	ds_bpermute_b32 v7, v25, v6
	s_waitcnt lgkmcnt(0)
	v_min_i32_e32 v6, v7, v6
	ds_bpermute_b32 v7, v26, v6
	s_waitcnt lgkmcnt(0)
	;; [unrolled: 3-line block ×6, first 2 shown]
	v_cmp_le_i32_e64 s0, s9, v6
	v_ashrrev_i32_e32 v7, 31, v6
	s_or_b32 s7, s0, s7
	s_andn2_b32 exec_lo, exec_lo, s7
	s_cbranch_execz .LBB16_17
.LBB16_7:                               ; =>This Loop Header: Depth=1
                                        ;     Child Loop BB16_10 Depth 2
	v_add_co_u32 v4, s0, v4, v0
	v_mov_b32_e32 v11, v3
	v_add_co_ci_u32_e64 v5, null, 0, v5, s0
	v_mov_b32_e32 v30, s9
	v_mov_b32_e32 v10, v2
	s_mov_b32 s12, exec_lo
	ds_write_b8 v17, v19 offset:16
	s_waitcnt lgkmcnt(0)
	buffer_gl0_inv
	v_cmpx_lt_i64_e64 v[4:5], v[2:3]
	s_cbranch_execz .LBB16_15
; %bb.8:                                ;   in Loop: Header=BB16_7 Depth=1
	v_lshlrev_b64 v[8:9], 2, v[4:5]
	v_mov_b32_e32 v11, v3
	v_mov_b32_e32 v30, s9
	;; [unrolled: 1-line block ×3, first 2 shown]
	s_mov_b32 s13, 0
	v_add_co_u32 v8, s0, s2, v8
	v_add_co_ci_u32_e64 v9, null, s3, v9, s0
	s_branch .LBB16_10
.LBB16_9:                               ;   in Loop: Header=BB16_10 Depth=2
	s_or_b32 exec_lo, exec_lo, s1
	v_add_co_u32 v4, s1, v4, 4
	v_add_co_ci_u32_e64 v5, null, 0, v5, s1
	s_xor_b32 s0, s0, -1
	v_cmp_ge_i64_e64 s1, v[4:5], v[2:3]
	s_or_b32 s1, s0, s1
	v_add_co_u32 v8, s0, v8, 16
	v_add_co_ci_u32_e64 v9, null, 0, v9, s0
	s_and_b32 s0, exec_lo, s1
	s_or_b32 s13, s0, s13
	s_andn2_b32 exec_lo, exec_lo, s13
	s_cbranch_execz .LBB16_14
.LBB16_10:                              ;   Parent Loop BB16_7 Depth=1
                                        ; =>  This Inner Loop Header: Depth=2
	global_load_dword v12, v[8:9], off
	s_waitcnt vmcnt(0)
	v_subrev_nc_u32_e32 v12, s11, v12
	v_sub_nc_u32_e32 v13, 0, v12
	v_max_i32_e32 v13, v12, v13
	v_ashrrev_i32_e32 v12, 31, v12
	v_mul_hi_u32 v14, v13, v28
	v_xor_b32_e32 v12, s10, v12
	v_mul_lo_u32 v15, v14, s6
	v_sub_nc_u32_e32 v13, v13, v15
	v_add_nc_u32_e32 v15, 1, v14
	v_subrev_nc_u32_e32 v31, s6, v13
	v_cmp_le_u32_e64 s0, s6, v13
	v_cndmask_b32_e64 v14, v14, v15, s0
	v_cndmask_b32_e64 v13, v13, v31, s0
	v_add_nc_u32_e32 v15, 1, v14
	v_cmp_le_u32_e64 s0, s6, v13
	v_cndmask_b32_e64 v13, v14, v15, s0
	v_xor_b32_e32 v13, v13, v12
	v_sub_nc_u32_e32 v14, v13, v12
	v_mov_b32_e32 v13, v11
	v_mov_b32_e32 v12, v10
	v_ashrrev_i32_e32 v15, 31, v14
	v_cmp_eq_u64_e64 s0, v[6:7], v[14:15]
	v_cmp_ne_u64_e64 s1, v[6:7], v[14:15]
	s_and_saveexec_b32 s14, s1
	s_xor_b32 s1, exec_lo, s14
; %bb.11:                               ;   in Loop: Header=BB16_10 Depth=2
	v_min_i32_e32 v30, v14, v30
                                        ; implicit-def: $vgpr12_vgpr13
; %bb.12:                               ;   in Loop: Header=BB16_10 Depth=2
	s_or_saveexec_b32 s1, s1
	v_mov_b32_e32 v11, v5
	v_mov_b32_e32 v10, v4
	s_xor_b32 exec_lo, exec_lo, s1
	s_cbranch_execz .LBB16_9
; %bb.13:                               ;   in Loop: Header=BB16_10 Depth=2
	v_mov_b32_e32 v10, v12
	v_mov_b32_e32 v11, v13
	ds_write_b8 v17, v29 offset:16
	s_branch .LBB16_9
.LBB16_14:                              ;   in Loop: Header=BB16_7 Depth=1
	s_or_b32 exec_lo, exec_lo, s13
.LBB16_15:                              ;   in Loop: Header=BB16_7 Depth=1
	s_or_b32 exec_lo, exec_lo, s12
	ds_bpermute_b32 v4, v22, v10
	ds_bpermute_b32 v5, v22, v11
	s_waitcnt lgkmcnt(0)
	buffer_gl0_inv
	ds_read_u8 v8, v17 offset:16
	v_cmp_lt_i64_e64 s0, v[4:5], v[10:11]
	v_cndmask_b32_e64 v5, v11, v5, s0
	v_cndmask_b32_e64 v4, v10, v4, s0
	ds_bpermute_b32 v7, v23, v5
	ds_bpermute_b32 v6, v23, v4
	s_waitcnt lgkmcnt(0)
	v_cmp_lt_i64_e64 s0, v[6:7], v[4:5]
	v_cndmask_b32_e64 v5, v5, v7, s0
	v_cndmask_b32_e64 v4, v4, v6, s0
	v_and_b32_e32 v6, 1, v8
	ds_bpermute_b32 v5, v21, v5
	ds_bpermute_b32 v4, v21, v4
	v_cmp_eq_u32_e64 s0, 1, v6
	s_and_b32 s1, vcc_lo, s0
	s_and_saveexec_b32 s0, s1
	s_cbranch_execz .LBB16_6
; %bb.16:                               ;   in Loop: Header=BB16_7 Depth=1
	ds_read_b32 v6, v16
	s_waitcnt lgkmcnt(0)
	v_add_nc_u32_e32 v6, 1, v6
	ds_write_b32 v16, v6
	s_branch .LBB16_6
.LBB16_17:
	s_or_b32 exec_lo, exec_lo, s7
.LBB16_18:
	s_mov_b32 s0, exec_lo
	v_cmpx_eq_u32_e32 0, v18
	s_cbranch_execz .LBB16_21
; %bb.19:
	s_clause 0x1
	s_load_dword s2, s[4:5], 0x28
	s_load_dwordx2 s[0:1], s[4:5], 0x30
	v_mov_b32_e32 v3, 0
	v_cmp_gt_u32_e32 vcc_lo, s8, v1
	s_waitcnt lgkmcnt(0)
	v_mov_b32_e32 v2, s2
	global_store_dwordx2 v3, v[2:3], s[0:1]
	s_and_b32 exec_lo, exec_lo, vcc_lo
	s_cbranch_execz .LBB16_21
; %bb.20:
	ds_read_b32 v0, v16
	v_mov_b32_e32 v2, v3
	v_lshlrev_b64 v[1:2], 3, v[1:2]
	v_add_co_u32 v3, vcc_lo, s0, v1
	v_add_co_ci_u32_e64 v4, null, s1, v2, vcc_lo
	s_waitcnt lgkmcnt(0)
	v_ashrrev_i32_e32 v1, 31, v0
	global_store_dwordx2 v[3:4], v[0:1], off offset:8
.LBB16_21:
	s_endpgm
	.section	.rodata,"a",@progbits
	.p2align	6, 0x0
	.amdhsa_kernel _ZN9rocsparseL46csr2bsr_nnz_wavefront_per_row_multipass_kernelILj256ELj64ELj16EliEEvT3_S1_S1_S1_S1_21rocsparse_index_base_PKT2_PKS1_S2_PS3_
		.amdhsa_group_segment_fixed_size 20
		.amdhsa_private_segment_fixed_size 0
		.amdhsa_kernarg_size 56
		.amdhsa_user_sgpr_count 6
		.amdhsa_user_sgpr_private_segment_buffer 1
		.amdhsa_user_sgpr_dispatch_ptr 0
		.amdhsa_user_sgpr_queue_ptr 0
		.amdhsa_user_sgpr_kernarg_segment_ptr 1
		.amdhsa_user_sgpr_dispatch_id 0
		.amdhsa_user_sgpr_flat_scratch_init 0
		.amdhsa_user_sgpr_private_segment_size 0
		.amdhsa_wavefront_size32 1
		.amdhsa_uses_dynamic_stack 0
		.amdhsa_system_sgpr_private_segment_wavefront_offset 0
		.amdhsa_system_sgpr_workgroup_id_x 1
		.amdhsa_system_sgpr_workgroup_id_y 0
		.amdhsa_system_sgpr_workgroup_id_z 0
		.amdhsa_system_sgpr_workgroup_info 0
		.amdhsa_system_vgpr_workitem_id 0
		.amdhsa_next_free_vgpr 32
		.amdhsa_next_free_sgpr 15
		.amdhsa_reserve_vcc 1
		.amdhsa_reserve_flat_scratch 0
		.amdhsa_float_round_mode_32 0
		.amdhsa_float_round_mode_16_64 0
		.amdhsa_float_denorm_mode_32 3
		.amdhsa_float_denorm_mode_16_64 3
		.amdhsa_dx10_clamp 1
		.amdhsa_ieee_mode 1
		.amdhsa_fp16_overflow 0
		.amdhsa_workgroup_processor_mode 1
		.amdhsa_memory_ordered 1
		.amdhsa_forward_progress 1
		.amdhsa_shared_vgpr_count 0
		.amdhsa_exception_fp_ieee_invalid_op 0
		.amdhsa_exception_fp_denorm_src 0
		.amdhsa_exception_fp_ieee_div_zero 0
		.amdhsa_exception_fp_ieee_overflow 0
		.amdhsa_exception_fp_ieee_underflow 0
		.amdhsa_exception_fp_ieee_inexact 0
		.amdhsa_exception_int_div_zero 0
	.end_amdhsa_kernel
	.section	.text._ZN9rocsparseL46csr2bsr_nnz_wavefront_per_row_multipass_kernelILj256ELj64ELj16EliEEvT3_S1_S1_S1_S1_21rocsparse_index_base_PKT2_PKS1_S2_PS3_,"axG",@progbits,_ZN9rocsparseL46csr2bsr_nnz_wavefront_per_row_multipass_kernelILj256ELj64ELj16EliEEvT3_S1_S1_S1_S1_21rocsparse_index_base_PKT2_PKS1_S2_PS3_,comdat
.Lfunc_end16:
	.size	_ZN9rocsparseL46csr2bsr_nnz_wavefront_per_row_multipass_kernelILj256ELj64ELj16EliEEvT3_S1_S1_S1_S1_21rocsparse_index_base_PKT2_PKS1_S2_PS3_, .Lfunc_end16-_ZN9rocsparseL46csr2bsr_nnz_wavefront_per_row_multipass_kernelILj256ELj64ELj16EliEEvT3_S1_S1_S1_S1_21rocsparse_index_base_PKT2_PKS1_S2_PS3_
                                        ; -- End function
	.set _ZN9rocsparseL46csr2bsr_nnz_wavefront_per_row_multipass_kernelILj256ELj64ELj16EliEEvT3_S1_S1_S1_S1_21rocsparse_index_base_PKT2_PKS1_S2_PS3_.num_vgpr, 32
	.set _ZN9rocsparseL46csr2bsr_nnz_wavefront_per_row_multipass_kernelILj256ELj64ELj16EliEEvT3_S1_S1_S1_S1_21rocsparse_index_base_PKT2_PKS1_S2_PS3_.num_agpr, 0
	.set _ZN9rocsparseL46csr2bsr_nnz_wavefront_per_row_multipass_kernelILj256ELj64ELj16EliEEvT3_S1_S1_S1_S1_21rocsparse_index_base_PKT2_PKS1_S2_PS3_.numbered_sgpr, 15
	.set _ZN9rocsparseL46csr2bsr_nnz_wavefront_per_row_multipass_kernelILj256ELj64ELj16EliEEvT3_S1_S1_S1_S1_21rocsparse_index_base_PKT2_PKS1_S2_PS3_.num_named_barrier, 0
	.set _ZN9rocsparseL46csr2bsr_nnz_wavefront_per_row_multipass_kernelILj256ELj64ELj16EliEEvT3_S1_S1_S1_S1_21rocsparse_index_base_PKT2_PKS1_S2_PS3_.private_seg_size, 0
	.set _ZN9rocsparseL46csr2bsr_nnz_wavefront_per_row_multipass_kernelILj256ELj64ELj16EliEEvT3_S1_S1_S1_S1_21rocsparse_index_base_PKT2_PKS1_S2_PS3_.uses_vcc, 1
	.set _ZN9rocsparseL46csr2bsr_nnz_wavefront_per_row_multipass_kernelILj256ELj64ELj16EliEEvT3_S1_S1_S1_S1_21rocsparse_index_base_PKT2_PKS1_S2_PS3_.uses_flat_scratch, 0
	.set _ZN9rocsparseL46csr2bsr_nnz_wavefront_per_row_multipass_kernelILj256ELj64ELj16EliEEvT3_S1_S1_S1_S1_21rocsparse_index_base_PKT2_PKS1_S2_PS3_.has_dyn_sized_stack, 0
	.set _ZN9rocsparseL46csr2bsr_nnz_wavefront_per_row_multipass_kernelILj256ELj64ELj16EliEEvT3_S1_S1_S1_S1_21rocsparse_index_base_PKT2_PKS1_S2_PS3_.has_recursion, 0
	.set _ZN9rocsparseL46csr2bsr_nnz_wavefront_per_row_multipass_kernelILj256ELj64ELj16EliEEvT3_S1_S1_S1_S1_21rocsparse_index_base_PKT2_PKS1_S2_PS3_.has_indirect_call, 0
	.section	.AMDGPU.csdata,"",@progbits
; Kernel info:
; codeLenInByte = 1344
; TotalNumSgprs: 17
; NumVgprs: 32
; ScratchSize: 0
; MemoryBound: 0
; FloatMode: 240
; IeeeMode: 1
; LDSByteSize: 20 bytes/workgroup (compile time only)
; SGPRBlocks: 0
; VGPRBlocks: 3
; NumSGPRsForWavesPerEU: 17
; NumVGPRsForWavesPerEU: 32
; Occupancy: 16
; WaveLimiterHint : 0
; COMPUTE_PGM_RSRC2:SCRATCH_EN: 0
; COMPUTE_PGM_RSRC2:USER_SGPR: 6
; COMPUTE_PGM_RSRC2:TRAP_HANDLER: 0
; COMPUTE_PGM_RSRC2:TGID_X_EN: 1
; COMPUTE_PGM_RSRC2:TGID_Y_EN: 0
; COMPUTE_PGM_RSRC2:TGID_Z_EN: 0
; COMPUTE_PGM_RSRC2:TIDIG_COMP_CNT: 0
	.section	.text._ZN9rocsparseL46csr2bsr_nnz_wavefront_per_row_multipass_kernelILj256ELj32ELj16EliEEvT3_S1_S1_S1_S1_21rocsparse_index_base_PKT2_PKS1_S2_PS3_,"axG",@progbits,_ZN9rocsparseL46csr2bsr_nnz_wavefront_per_row_multipass_kernelILj256ELj32ELj16EliEEvT3_S1_S1_S1_S1_21rocsparse_index_base_PKT2_PKS1_S2_PS3_,comdat
	.globl	_ZN9rocsparseL46csr2bsr_nnz_wavefront_per_row_multipass_kernelILj256ELj32ELj16EliEEvT3_S1_S1_S1_S1_21rocsparse_index_base_PKT2_PKS1_S2_PS3_ ; -- Begin function _ZN9rocsparseL46csr2bsr_nnz_wavefront_per_row_multipass_kernelILj256ELj32ELj16EliEEvT3_S1_S1_S1_S1_21rocsparse_index_base_PKT2_PKS1_S2_PS3_
	.p2align	8
	.type	_ZN9rocsparseL46csr2bsr_nnz_wavefront_per_row_multipass_kernelILj256ELj32ELj16EliEEvT3_S1_S1_S1_S1_21rocsparse_index_base_PKT2_PKS1_S2_PS3_,@function
_ZN9rocsparseL46csr2bsr_nnz_wavefront_per_row_multipass_kernelILj256ELj32ELj16EliEEvT3_S1_S1_S1_S1_21rocsparse_index_base_PKT2_PKS1_S2_PS3_: ; @_ZN9rocsparseL46csr2bsr_nnz_wavefront_per_row_multipass_kernelILj256ELj32ELj16EliEEvT3_S1_S1_S1_S1_21rocsparse_index_base_PKT2_PKS1_S2_PS3_
; %bb.0:
	s_clause 0x1
	s_load_dwordx4 s[8:11], s[4:5], 0x8
	s_load_dword s0, s[4:5], 0x0
	v_lshrrev_b32_e32 v17, 5, v0
	v_bfe_u32 v2, v0, 1, 4
	s_load_dwordx2 s[2:3], s[4:5], 0x18
	v_mov_b32_e32 v6, 0
	v_mov_b32_e32 v7, 0
	v_lshl_or_b32 v1, s6, 3, v17
	v_lshlrev_b32_e32 v16, 2, v17
	s_waitcnt lgkmcnt(0)
	v_mad_u64_u32 v[4:5], null, v1, s10, v[2:3]
	v_cmp_gt_i32_e32 vcc_lo, s10, v2
	v_mov_b32_e32 v2, 0
	v_mov_b32_e32 v5, 0
	;; [unrolled: 1-line block ×3, first 2 shown]
	v_cmp_gt_i32_e64 s0, s0, v4
	ds_write_b32 v16, v5
	s_waitcnt lgkmcnt(0)
	s_barrier
	buffer_gl0_inv
	s_and_b32 s0, vcc_lo, s0
	s_and_saveexec_b32 s1, s0
	s_cbranch_execz .LBB17_2
; %bb.1:
	v_ashrrev_i32_e32 v5, 31, v4
	v_lshlrev_b64 v[5:6], 3, v[4:5]
	v_add_co_u32 v5, vcc_lo, s2, v5
	v_add_co_ci_u32_e64 v6, null, s3, v6, vcc_lo
	global_load_dwordx2 v[6:7], v[5:6], off
	s_waitcnt vmcnt(0)
	v_sub_co_u32 v6, vcc_lo, v6, s11
	v_subrev_co_ci_u32_e64 v7, null, 0, v7, vcc_lo
.LBB17_2:
	s_or_b32 exec_lo, exec_lo, s1
	s_and_saveexec_b32 s1, s0
	s_cbranch_execz .LBB17_4
; %bb.3:
	v_ashrrev_i32_e32 v5, 31, v4
	v_lshlrev_b64 v[2:3], 3, v[4:5]
	v_add_co_u32 v2, vcc_lo, s2, v2
	v_add_co_ci_u32_e64 v3, null, s3, v3, vcc_lo
	global_load_dwordx2 v[2:3], v[2:3], off offset:8
	s_waitcnt vmcnt(0)
	v_sub_co_u32 v2, vcc_lo, v2, s11
	v_subrev_co_ci_u32_e64 v3, null, 0, v3, vcc_lo
.LBB17_4:
	s_or_b32 exec_lo, exec_lo, s1
	v_and_b32_e32 v18, 31, v0
	s_cmp_lt_i32 s9, 1
	v_cmp_eq_u32_e32 vcc_lo, 0, v18
	s_cbranch_scc1 .LBB17_18
; %bb.5:
	s_abs_i32 s6, s10
	v_mbcnt_lo_u32_b32 v8, -1, 0
	v_cvt_f32_u32_e32 v4, s6
	s_sub_i32 s0, 0, s6
	s_load_dwordx2 s[2:3], s[4:5], 0x20
	v_and_b32_e32 v0, 1, v0
	v_xor_b32_e32 v10, 1, v8
	v_rcp_iflag_f32_e32 v4, v4
	v_xor_b32_e32 v11, 16, v8
	v_xor_b32_e32 v12, 8, v8
	;; [unrolled: 1-line block ×4, first 2 shown]
	v_lshl_or_b32 v21, v8, 2, 4
	v_mov_b32_e32 v19, 0
	v_mov_b32_e32 v20, 0x7c
	;; [unrolled: 1-line block ×3, first 2 shown]
	s_mov_b32 s7, 0
	v_mul_f32_e32 v9, 0x4f7ffffe, v4
	v_mov_b32_e32 v4, 0
	v_mov_b32_e32 v5, 0
	s_ashr_i32 s10, s10, 31
	v_cvt_u32_f32_e32 v9, v9
	v_mul_lo_u32 v15, s0, v9
	v_cmp_gt_i32_e64 s0, 32, v10
	v_cndmask_b32_e64 v10, v8, v10, s0
	v_cmp_gt_i32_e64 s0, 32, v11
	v_mul_hi_u32 v15, v9, v15
	v_lshlrev_b32_e32 v22, 2, v10
	v_cndmask_b32_e64 v11, v8, v11, s0
	v_cmp_gt_i32_e64 s0, 32, v12
	v_add_nc_u32_e32 v27, v9, v15
	v_lshlrev_b32_e32 v23, 2, v11
	v_cndmask_b32_e64 v12, v8, v12, s0
	v_cmp_gt_i32_e64 s0, 32, v13
	v_lshlrev_b32_e32 v24, 2, v12
	v_cndmask_b32_e64 v13, v8, v13, s0
	v_cmp_gt_i32_e64 s0, 32, v14
	v_lshlrev_b32_e32 v25, 2, v13
	v_cndmask_b32_e64 v8, v8, v14, s0
	v_lshlrev_b32_e32 v26, 2, v8
	s_branch .LBB17_7
.LBB17_6:                               ;   in Loop: Header=BB17_7 Depth=1
	s_or_b32 exec_lo, exec_lo, s0
	ds_bpermute_b32 v4, v23, v29
	s_waitcnt lgkmcnt(0)
	buffer_gl0_inv
	v_min_i32_e32 v4, v4, v29
	ds_bpermute_b32 v5, v24, v4
	s_waitcnt lgkmcnt(0)
	v_min_i32_e32 v4, v5, v4
	ds_bpermute_b32 v5, v25, v4
	s_waitcnt lgkmcnt(0)
	;; [unrolled: 3-line block ×5, first 2 shown]
	v_cmp_le_i32_e64 s0, s9, v4
	v_ashrrev_i32_e32 v5, 31, v4
	s_or_b32 s7, s0, s7
	s_andn2_b32 exec_lo, exec_lo, s7
	s_cbranch_execz .LBB17_17
.LBB17_7:                               ; =>This Loop Header: Depth=1
                                        ;     Child Loop BB17_10 Depth 2
	v_add_co_u32 v6, s0, v6, v0
	v_mov_b32_e32 v9, v3
	v_add_co_ci_u32_e64 v7, null, 0, v7, s0
	v_mov_b32_e32 v29, s9
	v_mov_b32_e32 v8, v2
	s_mov_b32 s12, exec_lo
	ds_write_b8 v17, v19 offset:32
	s_waitcnt lgkmcnt(0)
	buffer_gl0_inv
	v_cmpx_lt_i64_e64 v[6:7], v[2:3]
	s_cbranch_execz .LBB17_15
; %bb.8:                                ;   in Loop: Header=BB17_7 Depth=1
	v_lshlrev_b64 v[8:9], 2, v[6:7]
	v_mov_b32_e32 v29, s9
	s_mov_b32 s13, 0
	v_add_co_u32 v10, s0, s2, v8
	v_add_co_ci_u32_e64 v11, null, s3, v9, s0
	v_mov_b32_e32 v9, v3
	v_mov_b32_e32 v8, v2
	s_branch .LBB17_10
.LBB17_9:                               ;   in Loop: Header=BB17_10 Depth=2
	s_or_b32 exec_lo, exec_lo, s1
	v_add_co_u32 v6, s1, v6, 2
	v_add_co_ci_u32_e64 v7, null, 0, v7, s1
	s_xor_b32 s0, s0, -1
	v_cmp_ge_i64_e64 s1, v[6:7], v[2:3]
	s_or_b32 s1, s0, s1
	v_add_co_u32 v10, s0, v10, 8
	v_add_co_ci_u32_e64 v11, null, 0, v11, s0
	s_and_b32 s0, exec_lo, s1
	s_or_b32 s13, s0, s13
	s_andn2_b32 exec_lo, exec_lo, s13
	s_cbranch_execz .LBB17_14
.LBB17_10:                              ;   Parent Loop BB17_7 Depth=1
                                        ; =>  This Inner Loop Header: Depth=2
	global_load_dword v12, v[10:11], off
	s_waitcnt vmcnt(0)
	v_subrev_nc_u32_e32 v12, s11, v12
	v_sub_nc_u32_e32 v13, 0, v12
	v_max_i32_e32 v13, v12, v13
	v_ashrrev_i32_e32 v12, 31, v12
	v_mul_hi_u32 v14, v13, v27
	v_xor_b32_e32 v12, s10, v12
	v_mul_lo_u32 v15, v14, s6
	v_sub_nc_u32_e32 v13, v13, v15
	v_add_nc_u32_e32 v15, 1, v14
	v_subrev_nc_u32_e32 v30, s6, v13
	v_cmp_le_u32_e64 s0, s6, v13
	v_cndmask_b32_e64 v14, v14, v15, s0
	v_cndmask_b32_e64 v13, v13, v30, s0
	v_add_nc_u32_e32 v15, 1, v14
	v_cmp_le_u32_e64 s0, s6, v13
	v_cndmask_b32_e64 v13, v14, v15, s0
	v_xor_b32_e32 v13, v13, v12
	v_sub_nc_u32_e32 v14, v13, v12
	v_mov_b32_e32 v13, v9
	v_mov_b32_e32 v12, v8
	v_ashrrev_i32_e32 v15, 31, v14
	v_cmp_eq_u64_e64 s0, v[4:5], v[14:15]
	v_cmp_ne_u64_e64 s1, v[4:5], v[14:15]
	s_and_saveexec_b32 s14, s1
	s_xor_b32 s1, exec_lo, s14
; %bb.11:                               ;   in Loop: Header=BB17_10 Depth=2
	v_min_i32_e32 v29, v14, v29
                                        ; implicit-def: $vgpr12_vgpr13
; %bb.12:                               ;   in Loop: Header=BB17_10 Depth=2
	s_or_saveexec_b32 s1, s1
	v_mov_b32_e32 v9, v7
	v_mov_b32_e32 v8, v6
	s_xor_b32 exec_lo, exec_lo, s1
	s_cbranch_execz .LBB17_9
; %bb.13:                               ;   in Loop: Header=BB17_10 Depth=2
	v_mov_b32_e32 v8, v12
	v_mov_b32_e32 v9, v13
	ds_write_b8 v17, v28 offset:32
	s_branch .LBB17_9
.LBB17_14:                              ;   in Loop: Header=BB17_7 Depth=1
	s_or_b32 exec_lo, exec_lo, s13
.LBB17_15:                              ;   in Loop: Header=BB17_7 Depth=1
	s_or_b32 exec_lo, exec_lo, s12
	ds_bpermute_b32 v4, v22, v8
	ds_bpermute_b32 v5, v22, v9
	s_waitcnt lgkmcnt(0)
	buffer_gl0_inv
	ds_read_u8 v10, v17 offset:32
	v_cmp_lt_i64_e64 s0, v[4:5], v[8:9]
	v_cndmask_b32_e64 v5, v9, v5, s0
	v_cndmask_b32_e64 v4, v8, v4, s0
	ds_bpermute_b32 v7, v21, v5
	ds_bpermute_b32 v6, v21, v4
	s_waitcnt lgkmcnt(2)
	v_and_b32_e32 v4, 1, v10
	v_cmp_eq_u32_e64 s0, 1, v4
	s_and_b32 s1, vcc_lo, s0
	s_and_saveexec_b32 s0, s1
	s_cbranch_execz .LBB17_6
; %bb.16:                               ;   in Loop: Header=BB17_7 Depth=1
	ds_read_b32 v4, v16
	s_waitcnt lgkmcnt(0)
	v_add_nc_u32_e32 v4, 1, v4
	ds_write_b32 v16, v4
	s_branch .LBB17_6
.LBB17_17:
	s_or_b32 exec_lo, exec_lo, s7
.LBB17_18:
	s_mov_b32 s0, exec_lo
	v_cmpx_eq_u32_e32 0, v18
	s_cbranch_execz .LBB17_21
; %bb.19:
	s_clause 0x1
	s_load_dword s2, s[4:5], 0x28
	s_load_dwordx2 s[0:1], s[4:5], 0x30
	v_mov_b32_e32 v3, 0
	v_cmp_gt_u32_e32 vcc_lo, s8, v1
	s_waitcnt lgkmcnt(0)
	v_mov_b32_e32 v2, s2
	global_store_dwordx2 v3, v[2:3], s[0:1]
	s_and_b32 exec_lo, exec_lo, vcc_lo
	s_cbranch_execz .LBB17_21
; %bb.20:
	ds_read_b32 v0, v16
	v_mov_b32_e32 v2, v3
	v_lshlrev_b64 v[1:2], 3, v[1:2]
	v_add_co_u32 v3, vcc_lo, s0, v1
	v_add_co_ci_u32_e64 v4, null, s1, v2, vcc_lo
	s_waitcnt lgkmcnt(0)
	v_ashrrev_i32_e32 v1, 31, v0
	global_store_dwordx2 v[3:4], v[0:1], off offset:8
.LBB17_21:
	s_endpgm
	.section	.rodata,"a",@progbits
	.p2align	6, 0x0
	.amdhsa_kernel _ZN9rocsparseL46csr2bsr_nnz_wavefront_per_row_multipass_kernelILj256ELj32ELj16EliEEvT3_S1_S1_S1_S1_21rocsparse_index_base_PKT2_PKS1_S2_PS3_
		.amdhsa_group_segment_fixed_size 40
		.amdhsa_private_segment_fixed_size 0
		.amdhsa_kernarg_size 56
		.amdhsa_user_sgpr_count 6
		.amdhsa_user_sgpr_private_segment_buffer 1
		.amdhsa_user_sgpr_dispatch_ptr 0
		.amdhsa_user_sgpr_queue_ptr 0
		.amdhsa_user_sgpr_kernarg_segment_ptr 1
		.amdhsa_user_sgpr_dispatch_id 0
		.amdhsa_user_sgpr_flat_scratch_init 0
		.amdhsa_user_sgpr_private_segment_size 0
		.amdhsa_wavefront_size32 1
		.amdhsa_uses_dynamic_stack 0
		.amdhsa_system_sgpr_private_segment_wavefront_offset 0
		.amdhsa_system_sgpr_workgroup_id_x 1
		.amdhsa_system_sgpr_workgroup_id_y 0
		.amdhsa_system_sgpr_workgroup_id_z 0
		.amdhsa_system_sgpr_workgroup_info 0
		.amdhsa_system_vgpr_workitem_id 0
		.amdhsa_next_free_vgpr 31
		.amdhsa_next_free_sgpr 15
		.amdhsa_reserve_vcc 1
		.amdhsa_reserve_flat_scratch 0
		.amdhsa_float_round_mode_32 0
		.amdhsa_float_round_mode_16_64 0
		.amdhsa_float_denorm_mode_32 3
		.amdhsa_float_denorm_mode_16_64 3
		.amdhsa_dx10_clamp 1
		.amdhsa_ieee_mode 1
		.amdhsa_fp16_overflow 0
		.amdhsa_workgroup_processor_mode 1
		.amdhsa_memory_ordered 1
		.amdhsa_forward_progress 1
		.amdhsa_shared_vgpr_count 0
		.amdhsa_exception_fp_ieee_invalid_op 0
		.amdhsa_exception_fp_denorm_src 0
		.amdhsa_exception_fp_ieee_div_zero 0
		.amdhsa_exception_fp_ieee_overflow 0
		.amdhsa_exception_fp_ieee_underflow 0
		.amdhsa_exception_fp_ieee_inexact 0
		.amdhsa_exception_int_div_zero 0
	.end_amdhsa_kernel
	.section	.text._ZN9rocsparseL46csr2bsr_nnz_wavefront_per_row_multipass_kernelILj256ELj32ELj16EliEEvT3_S1_S1_S1_S1_21rocsparse_index_base_PKT2_PKS1_S2_PS3_,"axG",@progbits,_ZN9rocsparseL46csr2bsr_nnz_wavefront_per_row_multipass_kernelILj256ELj32ELj16EliEEvT3_S1_S1_S1_S1_21rocsparse_index_base_PKT2_PKS1_S2_PS3_,comdat
.Lfunc_end17:
	.size	_ZN9rocsparseL46csr2bsr_nnz_wavefront_per_row_multipass_kernelILj256ELj32ELj16EliEEvT3_S1_S1_S1_S1_21rocsparse_index_base_PKT2_PKS1_S2_PS3_, .Lfunc_end17-_ZN9rocsparseL46csr2bsr_nnz_wavefront_per_row_multipass_kernelILj256ELj32ELj16EliEEvT3_S1_S1_S1_S1_21rocsparse_index_base_PKT2_PKS1_S2_PS3_
                                        ; -- End function
	.set _ZN9rocsparseL46csr2bsr_nnz_wavefront_per_row_multipass_kernelILj256ELj32ELj16EliEEvT3_S1_S1_S1_S1_21rocsparse_index_base_PKT2_PKS1_S2_PS3_.num_vgpr, 31
	.set _ZN9rocsparseL46csr2bsr_nnz_wavefront_per_row_multipass_kernelILj256ELj32ELj16EliEEvT3_S1_S1_S1_S1_21rocsparse_index_base_PKT2_PKS1_S2_PS3_.num_agpr, 0
	.set _ZN9rocsparseL46csr2bsr_nnz_wavefront_per_row_multipass_kernelILj256ELj32ELj16EliEEvT3_S1_S1_S1_S1_21rocsparse_index_base_PKT2_PKS1_S2_PS3_.numbered_sgpr, 15
	.set _ZN9rocsparseL46csr2bsr_nnz_wavefront_per_row_multipass_kernelILj256ELj32ELj16EliEEvT3_S1_S1_S1_S1_21rocsparse_index_base_PKT2_PKS1_S2_PS3_.num_named_barrier, 0
	.set _ZN9rocsparseL46csr2bsr_nnz_wavefront_per_row_multipass_kernelILj256ELj32ELj16EliEEvT3_S1_S1_S1_S1_21rocsparse_index_base_PKT2_PKS1_S2_PS3_.private_seg_size, 0
	.set _ZN9rocsparseL46csr2bsr_nnz_wavefront_per_row_multipass_kernelILj256ELj32ELj16EliEEvT3_S1_S1_S1_S1_21rocsparse_index_base_PKT2_PKS1_S2_PS3_.uses_vcc, 1
	.set _ZN9rocsparseL46csr2bsr_nnz_wavefront_per_row_multipass_kernelILj256ELj32ELj16EliEEvT3_S1_S1_S1_S1_21rocsparse_index_base_PKT2_PKS1_S2_PS3_.uses_flat_scratch, 0
	.set _ZN9rocsparseL46csr2bsr_nnz_wavefront_per_row_multipass_kernelILj256ELj32ELj16EliEEvT3_S1_S1_S1_S1_21rocsparse_index_base_PKT2_PKS1_S2_PS3_.has_dyn_sized_stack, 0
	.set _ZN9rocsparseL46csr2bsr_nnz_wavefront_per_row_multipass_kernelILj256ELj32ELj16EliEEvT3_S1_S1_S1_S1_21rocsparse_index_base_PKT2_PKS1_S2_PS3_.has_recursion, 0
	.set _ZN9rocsparseL46csr2bsr_nnz_wavefront_per_row_multipass_kernelILj256ELj32ELj16EliEEvT3_S1_S1_S1_S1_21rocsparse_index_base_PKT2_PKS1_S2_PS3_.has_indirect_call, 0
	.section	.AMDGPU.csdata,"",@progbits
; Kernel info:
; codeLenInByte = 1268
; TotalNumSgprs: 17
; NumVgprs: 31
; ScratchSize: 0
; MemoryBound: 0
; FloatMode: 240
; IeeeMode: 1
; LDSByteSize: 40 bytes/workgroup (compile time only)
; SGPRBlocks: 0
; VGPRBlocks: 3
; NumSGPRsForWavesPerEU: 17
; NumVGPRsForWavesPerEU: 31
; Occupancy: 16
; WaveLimiterHint : 0
; COMPUTE_PGM_RSRC2:SCRATCH_EN: 0
; COMPUTE_PGM_RSRC2:USER_SGPR: 6
; COMPUTE_PGM_RSRC2:TRAP_HANDLER: 0
; COMPUTE_PGM_RSRC2:TGID_X_EN: 1
; COMPUTE_PGM_RSRC2:TGID_Y_EN: 0
; COMPUTE_PGM_RSRC2:TGID_Z_EN: 0
; COMPUTE_PGM_RSRC2:TIDIG_COMP_CNT: 0
	.section	.text._ZN9rocsparseL42csr2bsr_nnz_block_per_row_multipass_kernelILj256ELj32EliEEvT2_S1_S1_S1_S1_21rocsparse_index_base_PKT1_PKS1_S2_PS3_,"axG",@progbits,_ZN9rocsparseL42csr2bsr_nnz_block_per_row_multipass_kernelILj256ELj32EliEEvT2_S1_S1_S1_S1_21rocsparse_index_base_PKT1_PKS1_S2_PS3_,comdat
	.globl	_ZN9rocsparseL42csr2bsr_nnz_block_per_row_multipass_kernelILj256ELj32EliEEvT2_S1_S1_S1_S1_21rocsparse_index_base_PKT1_PKS1_S2_PS3_ ; -- Begin function _ZN9rocsparseL42csr2bsr_nnz_block_per_row_multipass_kernelILj256ELj32EliEEvT2_S1_S1_S1_S1_21rocsparse_index_base_PKT1_PKS1_S2_PS3_
	.p2align	8
	.type	_ZN9rocsparseL42csr2bsr_nnz_block_per_row_multipass_kernelILj256ELj32EliEEvT2_S1_S1_S1_S1_21rocsparse_index_base_PKT1_PKS1_S2_PS3_,@function
_ZN9rocsparseL42csr2bsr_nnz_block_per_row_multipass_kernelILj256ELj32EliEEvT2_S1_S1_S1_S1_21rocsparse_index_base_PKT1_PKS1_S2_PS3_: ; @_ZN9rocsparseL42csr2bsr_nnz_block_per_row_multipass_kernelILj256ELj32EliEEvT2_S1_S1_S1_S1_21rocsparse_index_base_PKT1_PKS1_S2_PS3_
; %bb.0:
	s_clause 0x1
	s_load_dwordx4 s[12:15], s[4:5], 0xc
	s_load_dword s0, s[4:5], 0x0
	v_lshrrev_b32_e32 v1, 3, v0
	s_load_dwordx2 s[2:3], s[4:5], 0x18
	v_mov_b32_e32 v3, 0
	v_mov_b32_e32 v4, 0
	s_waitcnt lgkmcnt(0)
	v_mad_u64_u32 v[5:6], null, s13, s6, v[1:2]
	v_cmp_gt_i32_e32 vcc_lo, s13, v1
	v_mov_b32_e32 v1, 0
	v_mov_b32_e32 v6, 0
	;; [unrolled: 1-line block ×3, first 2 shown]
	v_cmp_gt_i32_e64 s0, s0, v5
	ds_write_b32 v6, v6 offset:1024
	s_waitcnt lgkmcnt(0)
	s_barrier
	buffer_gl0_inv
	s_and_b32 s0, vcc_lo, s0
	s_and_saveexec_b32 s1, s0
	s_cbranch_execnz .LBB18_3
; %bb.1:
	s_or_b32 exec_lo, exec_lo, s1
	s_and_saveexec_b32 s1, s0
	s_cbranch_execnz .LBB18_4
.LBB18_2:
	s_or_b32 exec_lo, exec_lo, s1
	v_cmp_eq_u32_e64 s0, 0, v0
	s_cmp_lt_i32 s12, 1
	s_cbranch_scc0 .LBB18_5
	s_branch .LBB18_33
.LBB18_3:
	v_ashrrev_i32_e32 v6, 31, v5
	v_lshlrev_b64 v[3:4], 3, v[5:6]
	v_add_co_u32 v3, vcc_lo, s2, v3
	v_add_co_ci_u32_e64 v4, null, s3, v4, vcc_lo
	global_load_dwordx2 v[3:4], v[3:4], off
	s_waitcnt vmcnt(0)
	v_sub_co_u32 v3, vcc_lo, v3, s14
	v_subrev_co_ci_u32_e64 v4, null, 0, v4, vcc_lo
	s_or_b32 exec_lo, exec_lo, s1
	s_and_saveexec_b32 s1, s0
	s_cbranch_execz .LBB18_2
.LBB18_4:
	v_ashrrev_i32_e32 v6, 31, v5
	v_lshlrev_b64 v[1:2], 3, v[5:6]
	v_add_co_u32 v1, vcc_lo, s2, v1
	v_add_co_ci_u32_e64 v2, null, s3, v2, vcc_lo
	global_load_dwordx2 v[1:2], v[1:2], off offset:8
	s_waitcnt vmcnt(0)
	v_sub_co_u32 v1, vcc_lo, v1, s14
	v_subrev_co_ci_u32_e64 v2, null, 0, v2, vcc_lo
	s_or_b32 exec_lo, exec_lo, s1
	v_cmp_eq_u32_e64 s0, 0, v0
	s_cmp_lt_i32 s12, 1
	s_cbranch_scc1 .LBB18_33
.LBB18_5:
	s_abs_i32 s15, s13
	v_mbcnt_lo_u32_b32 v7, -1, 0
	v_cvt_f32_u32_e32 v5, s15
	s_sub_i32 s10, 0, s15
	s_load_dwordx2 s[16:17], s[4:5], 0x20
	v_and_b32_e32 v15, 7, v0
	v_xor_b32_e32 v9, 2, v7
	v_rcp_iflag_f32_e32 v5, v5
	v_xor_b32_e32 v10, 1, v7
	v_mov_b32_e32 v16, 0
	v_lshlrev_b32_e32 v17, 2, v0
	v_cmp_gt_u32_e64 s1, 0x80, v0
	v_cmp_gt_u32_e64 s2, 64, v0
	;; [unrolled: 1-line block ×6, first 2 shown]
	v_mul_f32_e32 v5, 0x4f7ffffe, v5
	v_lshl_or_b32 v18, v7, 2, 28
	v_mov_b32_e32 v23, 1
	s_ashr_i32 s13, s13, 31
	v_cvt_u32_f32_e32 v8, v5
	v_xor_b32_e32 v5, 4, v7
	v_mul_lo_u32 v6, s10, v8
	v_cmp_gt_i32_e32 vcc_lo, 32, v5
	v_cmp_gt_u32_e64 s10, 2, v0
	v_cndmask_b32_e32 v11, v7, v5, vcc_lo
	v_cmp_gt_i32_e32 vcc_lo, 32, v9
	v_mul_hi_u32 v12, v8, v6
	v_mov_b32_e32 v5, 0
	v_mov_b32_e32 v6, 0
	v_lshlrev_b32_e32 v19, 2, v11
	v_cndmask_b32_e32 v9, v7, v9, vcc_lo
	v_cmp_gt_i32_e32 vcc_lo, 32, v10
	v_add_nc_u32_e32 v22, v8, v12
	v_lshlrev_b32_e32 v20, 2, v9
	v_cndmask_b32_e32 v10, v7, v10, vcc_lo
	v_lshlrev_b32_e32 v21, 2, v10
	s_branch .LBB18_7
.LBB18_6:                               ;   in Loop: Header=BB18_7 Depth=1
	s_or_b32 exec_lo, exec_lo, s11
	s_waitcnt lgkmcnt(0)
	s_barrier
	buffer_gl0_inv
	ds_read_b32 v5, v16
	s_waitcnt lgkmcnt(0)
	s_barrier
	buffer_gl0_inv
	v_cmp_gt_i32_e32 vcc_lo, s12, v5
	v_ashrrev_i32_e32 v6, 31, v5
	s_cbranch_vccz .LBB18_33
.LBB18_7:                               ; =>This Loop Header: Depth=1
                                        ;     Child Loop BB18_10 Depth 2
	v_add_co_u32 v3, vcc_lo, v3, v15
	v_mov_b32_e32 v8, v2
	v_add_co_ci_u32_e64 v4, null, 0, v4, vcc_lo
	v_mov_b32_e32 v24, s12
	v_mov_b32_e32 v7, v1
	s_mov_b32 s18, exec_lo
	ds_write_b8 v16, v16 offset:1028
	s_waitcnt lgkmcnt(0)
	s_barrier
	buffer_gl0_inv
	v_cmpx_lt_i64_e64 v[3:4], v[1:2]
	s_cbranch_execz .LBB18_15
; %bb.8:                                ;   in Loop: Header=BB18_7 Depth=1
	v_lshlrev_b64 v[7:8], 2, v[3:4]
	v_mov_b32_e32 v24, s12
	s_mov_b32 s19, 0
	v_add_co_u32 v9, vcc_lo, s16, v7
	v_add_co_ci_u32_e64 v10, null, s17, v8, vcc_lo
	v_mov_b32_e32 v8, v2
	v_mov_b32_e32 v7, v1
	s_branch .LBB18_10
.LBB18_9:                               ;   in Loop: Header=BB18_10 Depth=2
	s_or_b32 exec_lo, exec_lo, s11
	v_add_co_u32 v3, s11, v3, 8
	v_add_co_ci_u32_e64 v4, null, 0, v4, s11
	s_xor_b32 s20, vcc_lo, -1
	v_add_co_u32 v9, vcc_lo, v9, 32
	v_cmp_ge_i64_e64 s11, v[3:4], v[1:2]
	v_add_co_ci_u32_e64 v10, null, 0, v10, vcc_lo
	s_or_b32 s11, s20, s11
	s_and_b32 s11, exec_lo, s11
	s_or_b32 s19, s11, s19
	s_andn2_b32 exec_lo, exec_lo, s19
	s_cbranch_execz .LBB18_14
.LBB18_10:                              ;   Parent Loop BB18_7 Depth=1
                                        ; =>  This Inner Loop Header: Depth=2
	global_load_dword v11, v[9:10], off
	s_waitcnt vmcnt(0)
	v_subrev_nc_u32_e32 v11, s14, v11
	v_sub_nc_u32_e32 v12, 0, v11
	v_max_i32_e32 v12, v11, v12
	v_ashrrev_i32_e32 v11, 31, v11
	v_mul_hi_u32 v13, v12, v22
	v_xor_b32_e32 v11, s13, v11
	v_mul_lo_u32 v14, v13, s15
	v_sub_nc_u32_e32 v12, v12, v14
	v_add_nc_u32_e32 v14, 1, v13
	v_subrev_nc_u32_e32 v25, s15, v12
	v_cmp_le_u32_e32 vcc_lo, s15, v12
	v_cndmask_b32_e32 v13, v13, v14, vcc_lo
	v_cndmask_b32_e32 v12, v12, v25, vcc_lo
	v_add_nc_u32_e32 v14, 1, v13
	v_cmp_le_u32_e32 vcc_lo, s15, v12
	v_cndmask_b32_e32 v12, v13, v14, vcc_lo
	v_xor_b32_e32 v12, v12, v11
	v_sub_nc_u32_e32 v13, v12, v11
	v_mov_b32_e32 v12, v8
	v_mov_b32_e32 v11, v7
	v_ashrrev_i32_e32 v14, 31, v13
	v_cmp_ne_u64_e64 s11, v[5:6], v[13:14]
	v_cmp_eq_u64_e32 vcc_lo, v[5:6], v[13:14]
	s_and_saveexec_b32 s20, s11
	s_xor_b32 s11, exec_lo, s20
; %bb.11:                               ;   in Loop: Header=BB18_10 Depth=2
	v_min_i32_e32 v24, v13, v24
                                        ; implicit-def: $vgpr11_vgpr12
; %bb.12:                               ;   in Loop: Header=BB18_10 Depth=2
	s_or_saveexec_b32 s11, s11
	v_mov_b32_e32 v8, v4
	v_mov_b32_e32 v7, v3
	s_xor_b32 exec_lo, exec_lo, s11
	s_cbranch_execz .LBB18_9
; %bb.13:                               ;   in Loop: Header=BB18_10 Depth=2
	v_mov_b32_e32 v7, v11
	v_mov_b32_e32 v8, v12
	ds_write_b8 v16, v23 offset:1028
	s_branch .LBB18_9
.LBB18_14:                              ;   in Loop: Header=BB18_7 Depth=1
	s_or_b32 exec_lo, exec_lo, s19
.LBB18_15:                              ;   in Loop: Header=BB18_7 Depth=1
	s_or_b32 exec_lo, exec_lo, s18
	ds_bpermute_b32 v3, v19, v7
	ds_bpermute_b32 v4, v19, v8
	s_waitcnt lgkmcnt(0)
	s_barrier
	buffer_gl0_inv
	v_cmp_lt_i64_e32 vcc_lo, v[3:4], v[7:8]
	v_cndmask_b32_e32 v4, v8, v4, vcc_lo
	v_cndmask_b32_e32 v3, v7, v3, vcc_lo
	ds_read_u8 v7, v16 offset:1028
	ds_bpermute_b32 v6, v20, v4
	ds_bpermute_b32 v5, v20, v3
	s_waitcnt lgkmcnt(2)
	v_readfirstlane_b32 s11, v7
	s_waitcnt lgkmcnt(0)
	v_cmp_lt_i64_e32 vcc_lo, v[5:6], v[3:4]
	s_bitcmp1_b32 s11, 0
	s_cselect_b32 s11, -1, 0
	s_and_b32 s18, s0, s11
	v_cndmask_b32_e32 v4, v4, v6, vcc_lo
	v_cndmask_b32_e32 v3, v3, v5, vcc_lo
	ds_bpermute_b32 v6, v21, v4
	ds_bpermute_b32 v5, v21, v3
	s_waitcnt lgkmcnt(0)
	v_cmp_lt_i64_e32 vcc_lo, v[5:6], v[3:4]
	v_cndmask_b32_e32 v4, v4, v6, vcc_lo
	v_cndmask_b32_e32 v3, v3, v5, vcc_lo
	ds_bpermute_b32 v4, v18, v4
	ds_bpermute_b32 v3, v18, v3
	s_and_saveexec_b32 s11, s18
	s_cbranch_execz .LBB18_17
; %bb.16:                               ;   in Loop: Header=BB18_7 Depth=1
	ds_read_b32 v5, v16 offset:1024
	s_waitcnt lgkmcnt(0)
	v_add_nc_u32_e32 v5, 1, v5
	ds_write_b32 v16, v5 offset:1024
.LBB18_17:                              ;   in Loop: Header=BB18_7 Depth=1
	s_or_b32 exec_lo, exec_lo, s11
	ds_write_b32 v17, v24
	s_waitcnt lgkmcnt(0)
	s_barrier
	buffer_gl0_inv
	s_and_saveexec_b32 s11, s1
	s_cbranch_execz .LBB18_19
; %bb.18:                               ;   in Loop: Header=BB18_7 Depth=1
	ds_read2st64_b32 v[5:6], v17 offset1:2
	s_waitcnt lgkmcnt(0)
	v_min_i32_e32 v5, v6, v5
	ds_write_b32 v17, v5
.LBB18_19:                              ;   in Loop: Header=BB18_7 Depth=1
	s_or_b32 exec_lo, exec_lo, s11
	s_waitcnt lgkmcnt(0)
	s_barrier
	buffer_gl0_inv
	s_and_saveexec_b32 s11, s2
	s_cbranch_execz .LBB18_21
; %bb.20:                               ;   in Loop: Header=BB18_7 Depth=1
	ds_read2st64_b32 v[5:6], v17 offset1:1
	s_waitcnt lgkmcnt(0)
	v_min_i32_e32 v5, v6, v5
	ds_write_b32 v17, v5
.LBB18_21:                              ;   in Loop: Header=BB18_7 Depth=1
	s_or_b32 exec_lo, exec_lo, s11
	s_waitcnt lgkmcnt(0)
	s_barrier
	buffer_gl0_inv
	s_and_saveexec_b32 s11, s3
	s_cbranch_execz .LBB18_23
; %bb.22:                               ;   in Loop: Header=BB18_7 Depth=1
	ds_read2_b32 v[5:6], v17 offset1:32
	s_waitcnt lgkmcnt(0)
	v_min_i32_e32 v5, v6, v5
	ds_write_b32 v17, v5
.LBB18_23:                              ;   in Loop: Header=BB18_7 Depth=1
	s_or_b32 exec_lo, exec_lo, s11
	s_waitcnt lgkmcnt(0)
	s_barrier
	buffer_gl0_inv
	s_and_saveexec_b32 s11, s7
	s_cbranch_execz .LBB18_25
; %bb.24:                               ;   in Loop: Header=BB18_7 Depth=1
	ds_read2_b32 v[5:6], v17 offset1:16
	s_waitcnt lgkmcnt(0)
	v_min_i32_e32 v5, v6, v5
	ds_write_b32 v17, v5
.LBB18_25:                              ;   in Loop: Header=BB18_7 Depth=1
	;; [unrolled: 12-line block ×5, first 2 shown]
	s_or_b32 exec_lo, exec_lo, s11
	s_waitcnt lgkmcnt(0)
	s_barrier
	buffer_gl0_inv
	s_and_saveexec_b32 s11, s0
	s_cbranch_execz .LBB18_6
; %bb.32:                               ;   in Loop: Header=BB18_7 Depth=1
	ds_read_b64 v[5:6], v16
	s_waitcnt lgkmcnt(0)
	v_min_i32_e32 v5, v6, v5
	ds_write_b32 v16, v5
	s_branch .LBB18_6
.LBB18_33:
	s_mov_b32 s0, exec_lo
	v_cmpx_eq_u32_e32 0, v0
	s_cbranch_execz .LBB18_35
; %bb.34:
	v_mov_b32_e32 v1, 0
	s_clause 0x1
	s_load_dword s2, s[4:5], 0x28
	s_load_dwordx2 s[0:1], s[4:5], 0x30
	s_ashr_i32 s7, s6, 31
	ds_read_b32 v2, v1 offset:1024
	s_waitcnt lgkmcnt(0)
	v_mov_b32_e32 v0, s2
	s_lshl_b64 s[2:3], s[6:7], 3
	s_add_u32 s2, s0, s2
	v_ashrrev_i32_e32 v3, 31, v2
	s_addc_u32 s3, s1, s3
	global_store_dwordx2 v1, v[0:1], s[0:1]
	global_store_dwordx2 v1, v[2:3], s[2:3] offset:8
.LBB18_35:
	s_endpgm
	.section	.rodata,"a",@progbits
	.p2align	6, 0x0
	.amdhsa_kernel _ZN9rocsparseL42csr2bsr_nnz_block_per_row_multipass_kernelILj256ELj32EliEEvT2_S1_S1_S1_S1_21rocsparse_index_base_PKT1_PKS1_S2_PS3_
		.amdhsa_group_segment_fixed_size 1032
		.amdhsa_private_segment_fixed_size 0
		.amdhsa_kernarg_size 56
		.amdhsa_user_sgpr_count 6
		.amdhsa_user_sgpr_private_segment_buffer 1
		.amdhsa_user_sgpr_dispatch_ptr 0
		.amdhsa_user_sgpr_queue_ptr 0
		.amdhsa_user_sgpr_kernarg_segment_ptr 1
		.amdhsa_user_sgpr_dispatch_id 0
		.amdhsa_user_sgpr_flat_scratch_init 0
		.amdhsa_user_sgpr_private_segment_size 0
		.amdhsa_wavefront_size32 1
		.amdhsa_uses_dynamic_stack 0
		.amdhsa_system_sgpr_private_segment_wavefront_offset 0
		.amdhsa_system_sgpr_workgroup_id_x 1
		.amdhsa_system_sgpr_workgroup_id_y 0
		.amdhsa_system_sgpr_workgroup_id_z 0
		.amdhsa_system_sgpr_workgroup_info 0
		.amdhsa_system_vgpr_workitem_id 0
		.amdhsa_next_free_vgpr 26
		.amdhsa_next_free_sgpr 21
		.amdhsa_reserve_vcc 1
		.amdhsa_reserve_flat_scratch 0
		.amdhsa_float_round_mode_32 0
		.amdhsa_float_round_mode_16_64 0
		.amdhsa_float_denorm_mode_32 3
		.amdhsa_float_denorm_mode_16_64 3
		.amdhsa_dx10_clamp 1
		.amdhsa_ieee_mode 1
		.amdhsa_fp16_overflow 0
		.amdhsa_workgroup_processor_mode 1
		.amdhsa_memory_ordered 1
		.amdhsa_forward_progress 1
		.amdhsa_shared_vgpr_count 0
		.amdhsa_exception_fp_ieee_invalid_op 0
		.amdhsa_exception_fp_denorm_src 0
		.amdhsa_exception_fp_ieee_div_zero 0
		.amdhsa_exception_fp_ieee_overflow 0
		.amdhsa_exception_fp_ieee_underflow 0
		.amdhsa_exception_fp_ieee_inexact 0
		.amdhsa_exception_int_div_zero 0
	.end_amdhsa_kernel
	.section	.text._ZN9rocsparseL42csr2bsr_nnz_block_per_row_multipass_kernelILj256ELj32EliEEvT2_S1_S1_S1_S1_21rocsparse_index_base_PKT1_PKS1_S2_PS3_,"axG",@progbits,_ZN9rocsparseL42csr2bsr_nnz_block_per_row_multipass_kernelILj256ELj32EliEEvT2_S1_S1_S1_S1_21rocsparse_index_base_PKT1_PKS1_S2_PS3_,comdat
.Lfunc_end18:
	.size	_ZN9rocsparseL42csr2bsr_nnz_block_per_row_multipass_kernelILj256ELj32EliEEvT2_S1_S1_S1_S1_21rocsparse_index_base_PKT1_PKS1_S2_PS3_, .Lfunc_end18-_ZN9rocsparseL42csr2bsr_nnz_block_per_row_multipass_kernelILj256ELj32EliEEvT2_S1_S1_S1_S1_21rocsparse_index_base_PKT1_PKS1_S2_PS3_
                                        ; -- End function
	.set _ZN9rocsparseL42csr2bsr_nnz_block_per_row_multipass_kernelILj256ELj32EliEEvT2_S1_S1_S1_S1_21rocsparse_index_base_PKT1_PKS1_S2_PS3_.num_vgpr, 26
	.set _ZN9rocsparseL42csr2bsr_nnz_block_per_row_multipass_kernelILj256ELj32EliEEvT2_S1_S1_S1_S1_21rocsparse_index_base_PKT1_PKS1_S2_PS3_.num_agpr, 0
	.set _ZN9rocsparseL42csr2bsr_nnz_block_per_row_multipass_kernelILj256ELj32EliEEvT2_S1_S1_S1_S1_21rocsparse_index_base_PKT1_PKS1_S2_PS3_.numbered_sgpr, 21
	.set _ZN9rocsparseL42csr2bsr_nnz_block_per_row_multipass_kernelILj256ELj32EliEEvT2_S1_S1_S1_S1_21rocsparse_index_base_PKT1_PKS1_S2_PS3_.num_named_barrier, 0
	.set _ZN9rocsparseL42csr2bsr_nnz_block_per_row_multipass_kernelILj256ELj32EliEEvT2_S1_S1_S1_S1_21rocsparse_index_base_PKT1_PKS1_S2_PS3_.private_seg_size, 0
	.set _ZN9rocsparseL42csr2bsr_nnz_block_per_row_multipass_kernelILj256ELj32EliEEvT2_S1_S1_S1_S1_21rocsparse_index_base_PKT1_PKS1_S2_PS3_.uses_vcc, 1
	.set _ZN9rocsparseL42csr2bsr_nnz_block_per_row_multipass_kernelILj256ELj32EliEEvT2_S1_S1_S1_S1_21rocsparse_index_base_PKT1_PKS1_S2_PS3_.uses_flat_scratch, 0
	.set _ZN9rocsparseL42csr2bsr_nnz_block_per_row_multipass_kernelILj256ELj32EliEEvT2_S1_S1_S1_S1_21rocsparse_index_base_PKT1_PKS1_S2_PS3_.has_dyn_sized_stack, 0
	.set _ZN9rocsparseL42csr2bsr_nnz_block_per_row_multipass_kernelILj256ELj32EliEEvT2_S1_S1_S1_S1_21rocsparse_index_base_PKT1_PKS1_S2_PS3_.has_recursion, 0
	.set _ZN9rocsparseL42csr2bsr_nnz_block_per_row_multipass_kernelILj256ELj32EliEEvT2_S1_S1_S1_S1_21rocsparse_index_base_PKT1_PKS1_S2_PS3_.has_indirect_call, 0
	.section	.AMDGPU.csdata,"",@progbits
; Kernel info:
; codeLenInByte = 1620
; TotalNumSgprs: 23
; NumVgprs: 26
; ScratchSize: 0
; MemoryBound: 0
; FloatMode: 240
; IeeeMode: 1
; LDSByteSize: 1032 bytes/workgroup (compile time only)
; SGPRBlocks: 0
; VGPRBlocks: 3
; NumSGPRsForWavesPerEU: 23
; NumVGPRsForWavesPerEU: 26
; Occupancy: 16
; WaveLimiterHint : 0
; COMPUTE_PGM_RSRC2:SCRATCH_EN: 0
; COMPUTE_PGM_RSRC2:USER_SGPR: 6
; COMPUTE_PGM_RSRC2:TRAP_HANDLER: 0
; COMPUTE_PGM_RSRC2:TGID_X_EN: 1
; COMPUTE_PGM_RSRC2:TGID_Y_EN: 0
; COMPUTE_PGM_RSRC2:TGID_Z_EN: 0
; COMPUTE_PGM_RSRC2:TIDIG_COMP_CNT: 0
	.section	.text._ZN9rocsparseL42csr2bsr_nnz_block_per_row_multipass_kernelILj256ELj64EliEEvT2_S1_S1_S1_S1_21rocsparse_index_base_PKT1_PKS1_S2_PS3_,"axG",@progbits,_ZN9rocsparseL42csr2bsr_nnz_block_per_row_multipass_kernelILj256ELj64EliEEvT2_S1_S1_S1_S1_21rocsparse_index_base_PKT1_PKS1_S2_PS3_,comdat
	.globl	_ZN9rocsparseL42csr2bsr_nnz_block_per_row_multipass_kernelILj256ELj64EliEEvT2_S1_S1_S1_S1_21rocsparse_index_base_PKT1_PKS1_S2_PS3_ ; -- Begin function _ZN9rocsparseL42csr2bsr_nnz_block_per_row_multipass_kernelILj256ELj64EliEEvT2_S1_S1_S1_S1_21rocsparse_index_base_PKT1_PKS1_S2_PS3_
	.p2align	8
	.type	_ZN9rocsparseL42csr2bsr_nnz_block_per_row_multipass_kernelILj256ELj64EliEEvT2_S1_S1_S1_S1_21rocsparse_index_base_PKT1_PKS1_S2_PS3_,@function
_ZN9rocsparseL42csr2bsr_nnz_block_per_row_multipass_kernelILj256ELj64EliEEvT2_S1_S1_S1_S1_21rocsparse_index_base_PKT1_PKS1_S2_PS3_: ; @_ZN9rocsparseL42csr2bsr_nnz_block_per_row_multipass_kernelILj256ELj64EliEEvT2_S1_S1_S1_S1_21rocsparse_index_base_PKT1_PKS1_S2_PS3_
; %bb.0:
	s_clause 0x1
	s_load_dwordx4 s[12:15], s[4:5], 0xc
	s_load_dword s0, s[4:5], 0x0
	v_lshrrev_b32_e32 v1, 2, v0
	s_load_dwordx2 s[2:3], s[4:5], 0x18
	v_mov_b32_e32 v3, 0
	v_mov_b32_e32 v4, 0
	s_waitcnt lgkmcnt(0)
	v_mad_u64_u32 v[5:6], null, s13, s6, v[1:2]
	v_cmp_gt_i32_e32 vcc_lo, s13, v1
	v_mov_b32_e32 v1, 0
	v_mov_b32_e32 v6, 0
	;; [unrolled: 1-line block ×3, first 2 shown]
	v_cmp_gt_i32_e64 s0, s0, v5
	ds_write_b32 v6, v6 offset:1024
	s_waitcnt lgkmcnt(0)
	s_barrier
	buffer_gl0_inv
	s_and_b32 s0, vcc_lo, s0
	s_and_saveexec_b32 s1, s0
	s_cbranch_execnz .LBB19_3
; %bb.1:
	s_or_b32 exec_lo, exec_lo, s1
	s_and_saveexec_b32 s1, s0
	s_cbranch_execnz .LBB19_4
.LBB19_2:
	s_or_b32 exec_lo, exec_lo, s1
	v_cmp_eq_u32_e64 s0, 0, v0
	s_cmp_lt_i32 s12, 1
	s_cbranch_scc0 .LBB19_5
	s_branch .LBB19_33
.LBB19_3:
	v_ashrrev_i32_e32 v6, 31, v5
	v_lshlrev_b64 v[3:4], 3, v[5:6]
	v_add_co_u32 v3, vcc_lo, s2, v3
	v_add_co_ci_u32_e64 v4, null, s3, v4, vcc_lo
	global_load_dwordx2 v[3:4], v[3:4], off
	s_waitcnt vmcnt(0)
	v_sub_co_u32 v3, vcc_lo, v3, s14
	v_subrev_co_ci_u32_e64 v4, null, 0, v4, vcc_lo
	s_or_b32 exec_lo, exec_lo, s1
	s_and_saveexec_b32 s1, s0
	s_cbranch_execz .LBB19_2
.LBB19_4:
	v_ashrrev_i32_e32 v6, 31, v5
	v_lshlrev_b64 v[1:2], 3, v[5:6]
	v_add_co_u32 v1, vcc_lo, s2, v1
	v_add_co_ci_u32_e64 v2, null, s3, v2, vcc_lo
	global_load_dwordx2 v[1:2], v[1:2], off offset:8
	s_waitcnt vmcnt(0)
	v_sub_co_u32 v1, vcc_lo, v1, s14
	v_subrev_co_ci_u32_e64 v2, null, 0, v2, vcc_lo
	s_or_b32 exec_lo, exec_lo, s1
	v_cmp_eq_u32_e64 s0, 0, v0
	s_cmp_lt_i32 s12, 1
	s_cbranch_scc1 .LBB19_33
.LBB19_5:
	s_abs_i32 s15, s13
	v_mbcnt_lo_u32_b32 v7, -1, 0
	v_cvt_f32_u32_e32 v5, s15
	s_sub_i32 s7, 0, s15
	s_load_dwordx2 s[16:17], s[4:5], 0x20
	v_and_b32_e32 v15, 3, v0
	v_xor_b32_e32 v6, 2, v7
	v_rcp_iflag_f32_e32 v5, v5
	v_xor_b32_e32 v9, 1, v7
	v_mov_b32_e32 v16, 0
	v_lshlrev_b32_e32 v17, 2, v0
	v_cmp_gt_i32_e32 vcc_lo, 32, v6
	v_cmp_gt_u32_e64 s1, 0x80, v0
	v_cmp_gt_u32_e64 s2, 64, v0
	;; [unrolled: 1-line block ×4, first 2 shown]
	v_cndmask_b32_e32 v10, v7, v6, vcc_lo
	v_mul_f32_e32 v5, 0x4f7ffffe, v5
	v_cmp_gt_i32_e32 vcc_lo, 32, v9
	v_cmp_gt_u32_e64 s9, 4, v0
	v_cmp_gt_u32_e64 s10, 2, v0
	v_lshl_or_b32 v18, v7, 2, 12
	v_cvt_u32_f32_e32 v8, v5
	v_cndmask_b32_e32 v9, v7, v9, vcc_lo
	v_lshlrev_b32_e32 v19, 2, v10
	v_mov_b32_e32 v22, 1
	s_ashr_i32 s13, s13, 31
	v_mul_lo_u32 v5, s7, v8
	v_cmp_gt_u32_e64 s7, 16, v0
	v_lshlrev_b32_e32 v20, 2, v9
	v_mul_hi_u32 v11, v8, v5
	v_mov_b32_e32 v5, 0
	v_mov_b32_e32 v6, 0
	v_add_nc_u32_e32 v21, v8, v11
	s_branch .LBB19_7
.LBB19_6:                               ;   in Loop: Header=BB19_7 Depth=1
	s_or_b32 exec_lo, exec_lo, s11
	s_waitcnt lgkmcnt(0)
	s_barrier
	buffer_gl0_inv
	ds_read_b32 v5, v16
	s_waitcnt lgkmcnt(0)
	s_barrier
	buffer_gl0_inv
	v_cmp_gt_i32_e32 vcc_lo, s12, v5
	v_ashrrev_i32_e32 v6, 31, v5
	s_cbranch_vccz .LBB19_33
.LBB19_7:                               ; =>This Loop Header: Depth=1
                                        ;     Child Loop BB19_10 Depth 2
	v_add_co_u32 v3, vcc_lo, v3, v15
	v_mov_b32_e32 v8, v2
	v_add_co_ci_u32_e64 v4, null, 0, v4, vcc_lo
	v_mov_b32_e32 v23, s12
	v_mov_b32_e32 v7, v1
	s_mov_b32 s18, exec_lo
	ds_write_b8 v16, v16 offset:1028
	s_waitcnt lgkmcnt(0)
	s_barrier
	buffer_gl0_inv
	v_cmpx_lt_i64_e64 v[3:4], v[1:2]
	s_cbranch_execz .LBB19_15
; %bb.8:                                ;   in Loop: Header=BB19_7 Depth=1
	v_lshlrev_b64 v[7:8], 2, v[3:4]
	v_mov_b32_e32 v23, s12
	s_mov_b32 s19, 0
	v_add_co_u32 v9, vcc_lo, s16, v7
	v_add_co_ci_u32_e64 v10, null, s17, v8, vcc_lo
	v_mov_b32_e32 v8, v2
	v_mov_b32_e32 v7, v1
	s_branch .LBB19_10
.LBB19_9:                               ;   in Loop: Header=BB19_10 Depth=2
	s_or_b32 exec_lo, exec_lo, s11
	v_add_co_u32 v3, s11, v3, 4
	v_add_co_ci_u32_e64 v4, null, 0, v4, s11
	s_xor_b32 s20, vcc_lo, -1
	v_add_co_u32 v9, vcc_lo, v9, 16
	v_cmp_ge_i64_e64 s11, v[3:4], v[1:2]
	v_add_co_ci_u32_e64 v10, null, 0, v10, vcc_lo
	s_or_b32 s11, s20, s11
	s_and_b32 s11, exec_lo, s11
	s_or_b32 s19, s11, s19
	s_andn2_b32 exec_lo, exec_lo, s19
	s_cbranch_execz .LBB19_14
.LBB19_10:                              ;   Parent Loop BB19_7 Depth=1
                                        ; =>  This Inner Loop Header: Depth=2
	global_load_dword v11, v[9:10], off
	s_waitcnt vmcnt(0)
	v_subrev_nc_u32_e32 v11, s14, v11
	v_sub_nc_u32_e32 v12, 0, v11
	v_max_i32_e32 v12, v11, v12
	v_ashrrev_i32_e32 v11, 31, v11
	v_mul_hi_u32 v13, v12, v21
	v_xor_b32_e32 v11, s13, v11
	v_mul_lo_u32 v14, v13, s15
	v_sub_nc_u32_e32 v12, v12, v14
	v_add_nc_u32_e32 v14, 1, v13
	v_subrev_nc_u32_e32 v24, s15, v12
	v_cmp_le_u32_e32 vcc_lo, s15, v12
	v_cndmask_b32_e32 v13, v13, v14, vcc_lo
	v_cndmask_b32_e32 v12, v12, v24, vcc_lo
	v_add_nc_u32_e32 v14, 1, v13
	v_cmp_le_u32_e32 vcc_lo, s15, v12
	v_cndmask_b32_e32 v12, v13, v14, vcc_lo
	v_xor_b32_e32 v12, v12, v11
	v_sub_nc_u32_e32 v13, v12, v11
	v_mov_b32_e32 v12, v8
	v_mov_b32_e32 v11, v7
	v_ashrrev_i32_e32 v14, 31, v13
	v_cmp_ne_u64_e64 s11, v[5:6], v[13:14]
	v_cmp_eq_u64_e32 vcc_lo, v[5:6], v[13:14]
	s_and_saveexec_b32 s20, s11
	s_xor_b32 s11, exec_lo, s20
; %bb.11:                               ;   in Loop: Header=BB19_10 Depth=2
	v_min_i32_e32 v23, v13, v23
                                        ; implicit-def: $vgpr11_vgpr12
; %bb.12:                               ;   in Loop: Header=BB19_10 Depth=2
	s_or_saveexec_b32 s11, s11
	v_mov_b32_e32 v8, v4
	v_mov_b32_e32 v7, v3
	s_xor_b32 exec_lo, exec_lo, s11
	s_cbranch_execz .LBB19_9
; %bb.13:                               ;   in Loop: Header=BB19_10 Depth=2
	v_mov_b32_e32 v7, v11
	v_mov_b32_e32 v8, v12
	ds_write_b8 v16, v22 offset:1028
	s_branch .LBB19_9
.LBB19_14:                              ;   in Loop: Header=BB19_7 Depth=1
	s_or_b32 exec_lo, exec_lo, s19
.LBB19_15:                              ;   in Loop: Header=BB19_7 Depth=1
	s_or_b32 exec_lo, exec_lo, s18
	ds_bpermute_b32 v3, v19, v7
	ds_bpermute_b32 v4, v19, v8
	s_waitcnt lgkmcnt(0)
	s_barrier
	buffer_gl0_inv
	v_cmp_lt_i64_e32 vcc_lo, v[3:4], v[7:8]
	v_cndmask_b32_e32 v4, v8, v4, vcc_lo
	v_cndmask_b32_e32 v3, v7, v3, vcc_lo
	ds_read_u8 v7, v16 offset:1028
	ds_bpermute_b32 v6, v20, v4
	ds_bpermute_b32 v5, v20, v3
	s_waitcnt lgkmcnt(2)
	v_readfirstlane_b32 s11, v7
	s_waitcnt lgkmcnt(0)
	v_cmp_lt_i64_e32 vcc_lo, v[5:6], v[3:4]
	s_bitcmp1_b32 s11, 0
	s_cselect_b32 s11, -1, 0
	s_and_b32 s18, s0, s11
	v_cndmask_b32_e32 v4, v4, v6, vcc_lo
	v_cndmask_b32_e32 v3, v3, v5, vcc_lo
	ds_bpermute_b32 v4, v18, v4
	ds_bpermute_b32 v3, v18, v3
	s_and_saveexec_b32 s11, s18
	s_cbranch_execz .LBB19_17
; %bb.16:                               ;   in Loop: Header=BB19_7 Depth=1
	ds_read_b32 v5, v16 offset:1024
	s_waitcnt lgkmcnt(0)
	v_add_nc_u32_e32 v5, 1, v5
	ds_write_b32 v16, v5 offset:1024
.LBB19_17:                              ;   in Loop: Header=BB19_7 Depth=1
	s_or_b32 exec_lo, exec_lo, s11
	ds_write_b32 v17, v23
	s_waitcnt lgkmcnt(0)
	s_barrier
	buffer_gl0_inv
	s_and_saveexec_b32 s11, s1
	s_cbranch_execz .LBB19_19
; %bb.18:                               ;   in Loop: Header=BB19_7 Depth=1
	ds_read2st64_b32 v[5:6], v17 offset1:2
	s_waitcnt lgkmcnt(0)
	v_min_i32_e32 v5, v6, v5
	ds_write_b32 v17, v5
.LBB19_19:                              ;   in Loop: Header=BB19_7 Depth=1
	s_or_b32 exec_lo, exec_lo, s11
	s_waitcnt lgkmcnt(0)
	s_barrier
	buffer_gl0_inv
	s_and_saveexec_b32 s11, s2
	s_cbranch_execz .LBB19_21
; %bb.20:                               ;   in Loop: Header=BB19_7 Depth=1
	ds_read2st64_b32 v[5:6], v17 offset1:1
	s_waitcnt lgkmcnt(0)
	v_min_i32_e32 v5, v6, v5
	ds_write_b32 v17, v5
.LBB19_21:                              ;   in Loop: Header=BB19_7 Depth=1
	s_or_b32 exec_lo, exec_lo, s11
	s_waitcnt lgkmcnt(0)
	s_barrier
	buffer_gl0_inv
	s_and_saveexec_b32 s11, s3
	s_cbranch_execz .LBB19_23
; %bb.22:                               ;   in Loop: Header=BB19_7 Depth=1
	ds_read2_b32 v[5:6], v17 offset1:32
	s_waitcnt lgkmcnt(0)
	v_min_i32_e32 v5, v6, v5
	ds_write_b32 v17, v5
.LBB19_23:                              ;   in Loop: Header=BB19_7 Depth=1
	s_or_b32 exec_lo, exec_lo, s11
	s_waitcnt lgkmcnt(0)
	s_barrier
	buffer_gl0_inv
	s_and_saveexec_b32 s11, s7
	s_cbranch_execz .LBB19_25
; %bb.24:                               ;   in Loop: Header=BB19_7 Depth=1
	ds_read2_b32 v[5:6], v17 offset1:16
	s_waitcnt lgkmcnt(0)
	v_min_i32_e32 v5, v6, v5
	ds_write_b32 v17, v5
.LBB19_25:                              ;   in Loop: Header=BB19_7 Depth=1
	;; [unrolled: 12-line block ×5, first 2 shown]
	s_or_b32 exec_lo, exec_lo, s11
	s_waitcnt lgkmcnt(0)
	s_barrier
	buffer_gl0_inv
	s_and_saveexec_b32 s11, s0
	s_cbranch_execz .LBB19_6
; %bb.32:                               ;   in Loop: Header=BB19_7 Depth=1
	ds_read_b64 v[5:6], v16
	s_waitcnt lgkmcnt(0)
	v_min_i32_e32 v5, v6, v5
	ds_write_b32 v16, v5
	s_branch .LBB19_6
.LBB19_33:
	s_mov_b32 s0, exec_lo
	v_cmpx_eq_u32_e32 0, v0
	s_cbranch_execz .LBB19_35
; %bb.34:
	v_mov_b32_e32 v1, 0
	s_clause 0x1
	s_load_dword s2, s[4:5], 0x28
	s_load_dwordx2 s[0:1], s[4:5], 0x30
	s_ashr_i32 s7, s6, 31
	ds_read_b32 v2, v1 offset:1024
	s_waitcnt lgkmcnt(0)
	v_mov_b32_e32 v0, s2
	s_lshl_b64 s[2:3], s[6:7], 3
	s_add_u32 s2, s0, s2
	v_ashrrev_i32_e32 v3, 31, v2
	s_addc_u32 s3, s1, s3
	global_store_dwordx2 v1, v[0:1], s[0:1]
	global_store_dwordx2 v1, v[2:3], s[2:3] offset:8
.LBB19_35:
	s_endpgm
	.section	.rodata,"a",@progbits
	.p2align	6, 0x0
	.amdhsa_kernel _ZN9rocsparseL42csr2bsr_nnz_block_per_row_multipass_kernelILj256ELj64EliEEvT2_S1_S1_S1_S1_21rocsparse_index_base_PKT1_PKS1_S2_PS3_
		.amdhsa_group_segment_fixed_size 1032
		.amdhsa_private_segment_fixed_size 0
		.amdhsa_kernarg_size 56
		.amdhsa_user_sgpr_count 6
		.amdhsa_user_sgpr_private_segment_buffer 1
		.amdhsa_user_sgpr_dispatch_ptr 0
		.amdhsa_user_sgpr_queue_ptr 0
		.amdhsa_user_sgpr_kernarg_segment_ptr 1
		.amdhsa_user_sgpr_dispatch_id 0
		.amdhsa_user_sgpr_flat_scratch_init 0
		.amdhsa_user_sgpr_private_segment_size 0
		.amdhsa_wavefront_size32 1
		.amdhsa_uses_dynamic_stack 0
		.amdhsa_system_sgpr_private_segment_wavefront_offset 0
		.amdhsa_system_sgpr_workgroup_id_x 1
		.amdhsa_system_sgpr_workgroup_id_y 0
		.amdhsa_system_sgpr_workgroup_id_z 0
		.amdhsa_system_sgpr_workgroup_info 0
		.amdhsa_system_vgpr_workitem_id 0
		.amdhsa_next_free_vgpr 25
		.amdhsa_next_free_sgpr 21
		.amdhsa_reserve_vcc 1
		.amdhsa_reserve_flat_scratch 0
		.amdhsa_float_round_mode_32 0
		.amdhsa_float_round_mode_16_64 0
		.amdhsa_float_denorm_mode_32 3
		.amdhsa_float_denorm_mode_16_64 3
		.amdhsa_dx10_clamp 1
		.amdhsa_ieee_mode 1
		.amdhsa_fp16_overflow 0
		.amdhsa_workgroup_processor_mode 1
		.amdhsa_memory_ordered 1
		.amdhsa_forward_progress 1
		.amdhsa_shared_vgpr_count 0
		.amdhsa_exception_fp_ieee_invalid_op 0
		.amdhsa_exception_fp_denorm_src 0
		.amdhsa_exception_fp_ieee_div_zero 0
		.amdhsa_exception_fp_ieee_overflow 0
		.amdhsa_exception_fp_ieee_underflow 0
		.amdhsa_exception_fp_ieee_inexact 0
		.amdhsa_exception_int_div_zero 0
	.end_amdhsa_kernel
	.section	.text._ZN9rocsparseL42csr2bsr_nnz_block_per_row_multipass_kernelILj256ELj64EliEEvT2_S1_S1_S1_S1_21rocsparse_index_base_PKT1_PKS1_S2_PS3_,"axG",@progbits,_ZN9rocsparseL42csr2bsr_nnz_block_per_row_multipass_kernelILj256ELj64EliEEvT2_S1_S1_S1_S1_21rocsparse_index_base_PKT1_PKS1_S2_PS3_,comdat
.Lfunc_end19:
	.size	_ZN9rocsparseL42csr2bsr_nnz_block_per_row_multipass_kernelILj256ELj64EliEEvT2_S1_S1_S1_S1_21rocsparse_index_base_PKT1_PKS1_S2_PS3_, .Lfunc_end19-_ZN9rocsparseL42csr2bsr_nnz_block_per_row_multipass_kernelILj256ELj64EliEEvT2_S1_S1_S1_S1_21rocsparse_index_base_PKT1_PKS1_S2_PS3_
                                        ; -- End function
	.set _ZN9rocsparseL42csr2bsr_nnz_block_per_row_multipass_kernelILj256ELj64EliEEvT2_S1_S1_S1_S1_21rocsparse_index_base_PKT1_PKS1_S2_PS3_.num_vgpr, 25
	.set _ZN9rocsparseL42csr2bsr_nnz_block_per_row_multipass_kernelILj256ELj64EliEEvT2_S1_S1_S1_S1_21rocsparse_index_base_PKT1_PKS1_S2_PS3_.num_agpr, 0
	.set _ZN9rocsparseL42csr2bsr_nnz_block_per_row_multipass_kernelILj256ELj64EliEEvT2_S1_S1_S1_S1_21rocsparse_index_base_PKT1_PKS1_S2_PS3_.numbered_sgpr, 21
	.set _ZN9rocsparseL42csr2bsr_nnz_block_per_row_multipass_kernelILj256ELj64EliEEvT2_S1_S1_S1_S1_21rocsparse_index_base_PKT1_PKS1_S2_PS3_.num_named_barrier, 0
	.set _ZN9rocsparseL42csr2bsr_nnz_block_per_row_multipass_kernelILj256ELj64EliEEvT2_S1_S1_S1_S1_21rocsparse_index_base_PKT1_PKS1_S2_PS3_.private_seg_size, 0
	.set _ZN9rocsparseL42csr2bsr_nnz_block_per_row_multipass_kernelILj256ELj64EliEEvT2_S1_S1_S1_S1_21rocsparse_index_base_PKT1_PKS1_S2_PS3_.uses_vcc, 1
	.set _ZN9rocsparseL42csr2bsr_nnz_block_per_row_multipass_kernelILj256ELj64EliEEvT2_S1_S1_S1_S1_21rocsparse_index_base_PKT1_PKS1_S2_PS3_.uses_flat_scratch, 0
	.set _ZN9rocsparseL42csr2bsr_nnz_block_per_row_multipass_kernelILj256ELj64EliEEvT2_S1_S1_S1_S1_21rocsparse_index_base_PKT1_PKS1_S2_PS3_.has_dyn_sized_stack, 0
	.set _ZN9rocsparseL42csr2bsr_nnz_block_per_row_multipass_kernelILj256ELj64EliEEvT2_S1_S1_S1_S1_21rocsparse_index_base_PKT1_PKS1_S2_PS3_.has_recursion, 0
	.set _ZN9rocsparseL42csr2bsr_nnz_block_per_row_multipass_kernelILj256ELj64EliEEvT2_S1_S1_S1_S1_21rocsparse_index_base_PKT1_PKS1_S2_PS3_.has_indirect_call, 0
	.section	.AMDGPU.csdata,"",@progbits
; Kernel info:
; codeLenInByte = 1572
; TotalNumSgprs: 23
; NumVgprs: 25
; ScratchSize: 0
; MemoryBound: 0
; FloatMode: 240
; IeeeMode: 1
; LDSByteSize: 1032 bytes/workgroup (compile time only)
; SGPRBlocks: 0
; VGPRBlocks: 3
; NumSGPRsForWavesPerEU: 23
; NumVGPRsForWavesPerEU: 25
; Occupancy: 16
; WaveLimiterHint : 0
; COMPUTE_PGM_RSRC2:SCRATCH_EN: 0
; COMPUTE_PGM_RSRC2:USER_SGPR: 6
; COMPUTE_PGM_RSRC2:TRAP_HANDLER: 0
; COMPUTE_PGM_RSRC2:TGID_X_EN: 1
; COMPUTE_PGM_RSRC2:TGID_Y_EN: 0
; COMPUTE_PGM_RSRC2:TGID_Z_EN: 0
; COMPUTE_PGM_RSRC2:TIDIG_COMP_CNT: 0
	.section	.text._ZN9rocsparseL25csr2bsr_nnz_65_inf_kernelILj32EliEEvT1_S1_S1_S1_S1_S1_21rocsparse_index_base_PKT0_PKS1_S2_PS3_S8_,"axG",@progbits,_ZN9rocsparseL25csr2bsr_nnz_65_inf_kernelILj32EliEEvT1_S1_S1_S1_S1_S1_21rocsparse_index_base_PKT0_PKS1_S2_PS3_S8_,comdat
	.globl	_ZN9rocsparseL25csr2bsr_nnz_65_inf_kernelILj32EliEEvT1_S1_S1_S1_S1_S1_21rocsparse_index_base_PKT0_PKS1_S2_PS3_S8_ ; -- Begin function _ZN9rocsparseL25csr2bsr_nnz_65_inf_kernelILj32EliEEvT1_S1_S1_S1_S1_S1_21rocsparse_index_base_PKT0_PKS1_S2_PS3_S8_
	.p2align	8
	.type	_ZN9rocsparseL25csr2bsr_nnz_65_inf_kernelILj32EliEEvT1_S1_S1_S1_S1_S1_21rocsparse_index_base_PKT0_PKS1_S2_PS3_S8_,@function
_ZN9rocsparseL25csr2bsr_nnz_65_inf_kernelILj32EliEEvT1_S1_S1_S1_S1_S1_21rocsparse_index_base_PKT0_PKS1_S2_PS3_S8_: ; @_ZN9rocsparseL25csr2bsr_nnz_65_inf_kernelILj32EliEEvT1_S1_S1_S1_S1_S1_21rocsparse_index_base_PKT0_PKS1_S2_PS3_S8_
; %bb.0:
	s_clause 0x2
	s_load_dwordx4 s[8:11], s[4:5], 0x8
	s_load_dwordx2 s[0:1], s[4:5], 0x40
	s_load_dword s7, s[4:5], 0x18
	s_mov_b32 s13, 0
	s_waitcnt lgkmcnt(0)
	v_mul_lo_u32 v1, s11, v0
	s_mul_i32 s2, s6, s11
	s_lshl_b32 s12, s2, 6
	s_lshl_b64 s[2:3], s[12:13], 3
	s_add_u32 s17, s0, s2
	v_ashrrev_i32_e32 v2, 31, v1
	s_addc_u32 s18, s1, s3
	s_lshl_b32 s12, s11, 5
	s_cmp_gt_i32 s11, 0
	s_cselect_b32 s16, -1, 0
	v_lshlrev_b64 v[3:4], 3, v[1:2]
	s_cmp_lt_i32 s11, 1
	v_add_co_u32 v1, vcc_lo, s17, v3
	v_add_co_ci_u32_e64 v2, null, s18, v4, vcc_lo
	s_cbranch_scc1 .LBB20_5
; %bb.1:
	s_clause 0x1
	s_load_dwordx2 s[2:3], s[4:5], 0x20
	s_load_dword s19, s[4:5], 0x0
	s_mov_b32 s1, s13
	s_mov_b32 s0, s13
	v_mov_b32_e32 v6, s1
	v_mov_b32_e32 v8, v2
	;; [unrolled: 1-line block ×5, first 2 shown]
	s_mul_i32 s20, s10, s6
	s_lshl_b64 s[14:15], s[12:13], 3
	s_mov_b32 s21, s11
	s_inst_prefetch 0x1
	s_branch .LBB20_3
	.p2align	6
.LBB20_2:                               ;   in Loop: Header=BB20_3 Depth=1
	s_or_b32 exec_lo, exec_lo, s0
	v_add_co_u32 v7, vcc_lo, v7, 8
	v_add_co_ci_u32_e64 v8, null, 0, v8, vcc_lo
	v_add_nc_u32_e32 v13, 32, v13
	s_add_i32 s21, s21, -1
	s_cmp_eq_u32 s21, 0
	s_cbranch_scc1 .LBB20_5
.LBB20_3:                               ; =>This Inner Loop Header: Depth=1
	v_add_nc_u32_e32 v11, s20, v13
	v_cmp_gt_u32_e32 vcc_lo, s10, v13
	v_add_co_u32 v9, s1, v7, s14
	v_add_co_ci_u32_e64 v10, null, s15, v8, s1
	s_waitcnt lgkmcnt(0)
	v_cmp_gt_i32_e64 s0, s19, v11
	global_store_dwordx2 v[7:8], v[5:6], off
	global_store_dwordx2 v[9:10], v[5:6], off
	s_and_b32 s1, vcc_lo, s0
	s_and_saveexec_b32 s0, s1
	s_cbranch_execz .LBB20_2
; %bb.4:                                ;   in Loop: Header=BB20_3 Depth=1
	v_ashrrev_i32_e32 v12, 31, v11
	v_lshlrev_b64 v[11:12], 3, v[11:12]
	v_add_co_u32 v11, vcc_lo, s2, v11
	v_add_co_ci_u32_e64 v12, null, s3, v12, vcc_lo
	global_load_dwordx4 v[14:17], v[11:12], off
	s_waitcnt vmcnt(0)
	v_sub_co_u32 v11, vcc_lo, v14, s7
	v_subrev_co_ci_u32_e64 v12, null, 0, v15, vcc_lo
	v_sub_co_u32 v14, vcc_lo, v16, s7
	v_subrev_co_ci_u32_e64 v15, null, 0, v17, vcc_lo
	global_store_dwordx2 v[7:8], v[11:12], off
	global_store_dwordx2 v[9:10], v[14:15], off
	s_branch .LBB20_2
.LBB20_5:
	s_inst_prefetch 0x2
	s_load_dwordx2 s[2:3], s[4:5], 0x38
	v_cmp_eq_u32_e64 s0, 31, v0
	s_cmp_lt_i32 s9, 1
	s_cbranch_scc1 .LBB20_20
; %bb.6:
	s_lshl_b64 s[12:13], s[12:13], 3
	v_mbcnt_lo_u32_b32 v6, -1, 0
	s_add_u32 s1, s17, s12
	s_addc_u32 s14, s18, s13
	s_abs_i32 s17, s10
	v_add_co_u32 v15, vcc_lo, s1, v3
	v_cvt_f32_u32_e32 v5, s17
	v_xor_b32_e32 v3, 16, v6
	v_add_co_ci_u32_e64 v16, null, s14, v4, vcc_lo
	v_xor_b32_e32 v4, 8, v6
	v_rcp_iflag_f32_e32 v5, v5
	v_cmp_gt_i32_e32 vcc_lo, 32, v3
	v_xor_b32_e32 v7, 4, v6
	v_xor_b32_e32 v8, 2, v6
	s_sub_i32 s1, 0, s17
	s_load_dwordx2 s[12:13], s[4:5], 0x28
	v_cndmask_b32_e32 v3, v6, v3, vcc_lo
	v_cmp_gt_i32_e32 vcc_lo, 32, v4
	v_xor_b32_e32 v9, 1, v6
	v_mov_b32_e32 v14, 0x7c
	v_mul_f32_e32 v5, 0x4f7ffffe, v5
	v_mov_b32_e32 v17, 0
	v_cndmask_b32_e32 v4, v6, v4, vcc_lo
	v_cmp_gt_i32_e32 vcc_lo, 32, v7
	v_lshlrev_b32_e32 v18, 2, v3
	v_cvt_u32_f32_e32 v5, v5
	v_mov_b32_e32 v3, 0
	v_lshlrev_b32_e32 v19, 2, v4
	v_cndmask_b32_e32 v7, v6, v7, vcc_lo
	v_cmp_gt_i32_e32 vcc_lo, 32, v8
	v_mul_lo_u32 v10, s1, v5
	s_mov_b32 s15, 0
	s_ashr_i32 s18, s10, 31
	v_lshlrev_b32_e32 v20, 2, v7
	v_cndmask_b32_e32 v8, v6, v8, vcc_lo
	v_cmp_gt_i32_e32 vcc_lo, 32, v9
	s_mov_b32 s10, 0
	v_mul_hi_u32 v10, v5, v10
	v_lshlrev_b32_e32 v21, 2, v8
	v_cndmask_b32_e32 v6, v6, v9, vcc_lo
	v_lshlrev_b32_e32 v22, 2, v6
	v_add_nc_u32_e32 v23, v5, v10
	s_branch .LBB20_8
.LBB20_7:                               ;   in Loop: Header=BB20_8 Depth=1
	ds_bpermute_b32 v4, v18, v24
	s_waitcnt lgkmcnt(0)
	v_min_i32_e32 v4, v4, v24
	ds_bpermute_b32 v5, v19, v4
	s_waitcnt lgkmcnt(0)
	v_min_i32_e32 v4, v5, v4
	;; [unrolled: 3-line block ×5, first 2 shown]
	ds_bpermute_b32 v4, v14, v4
	s_waitcnt lgkmcnt(0)
	v_cmp_gt_i32_e32 vcc_lo, s9, v4
	v_add_nc_u32_e32 v17, 1, v4
	s_and_b32 s1, s0, vcc_lo
	v_cmp_le_i32_e32 vcc_lo, s9, v17
	v_cndmask_b32_e64 v4, 0, 1, s1
	s_or_b32 s10, vcc_lo, s10
	v_add_nc_u32_e32 v3, v3, v4
	s_andn2_b32 exec_lo, exec_lo, s10
	s_cbranch_execz .LBB20_19
.LBB20_8:                               ; =>This Loop Header: Depth=1
                                        ;     Child Loop BB20_12 Depth 2
                                        ;       Child Loop BB20_15 Depth 3
	v_mov_b32_e32 v24, s9
	s_andn2_b32 vcc_lo, exec_lo, s16
	s_cbranch_vccnz .LBB20_7
; %bb.9:                                ;   in Loop: Header=BB20_8 Depth=1
	v_mov_b32_e32 v24, s9
	s_mov_b32 s14, 0
	s_branch .LBB20_12
.LBB20_10:                              ;   in Loop: Header=BB20_12 Depth=2
	s_or_b32 exec_lo, exec_lo, s1
.LBB20_11:                              ;   in Loop: Header=BB20_12 Depth=2
	s_or_b32 exec_lo, exec_lo, s19
	s_add_i32 s14, s14, 1
	s_cmp_eq_u32 s14, s11
	s_cbranch_scc1 .LBB20_7
.LBB20_12:                              ;   Parent Loop BB20_8 Depth=1
                                        ; =>  This Loop Header: Depth=2
                                        ;       Child Loop BB20_15 Depth 3
	s_lshl_b64 s[20:21], s[14:15], 3
	s_mov_b32 s19, exec_lo
	v_add_co_u32 v4, vcc_lo, v1, s20
	v_add_co_ci_u32_e64 v5, null, s21, v2, vcc_lo
	v_add_co_u32 v6, vcc_lo, v15, s20
	v_add_co_ci_u32_e64 v7, null, s21, v16, vcc_lo
	s_clause 0x1
	global_load_dwordx2 v[8:9], v[4:5], off
	global_load_dwordx2 v[6:7], v[6:7], off
	s_waitcnt vmcnt(0)
	v_cmpx_lt_i64_e64 v[8:9], v[6:7]
	s_cbranch_execz .LBB20_11
; %bb.13:                               ;   in Loop: Header=BB20_12 Depth=2
	v_lshlrev_b64 v[10:11], 2, v[8:9]
	s_mov_b32 s20, 0
                                        ; implicit-def: $sgpr21
                                        ; implicit-def: $sgpr23
                                        ; implicit-def: $sgpr22
	s_waitcnt lgkmcnt(0)
	v_add_co_u32 v10, vcc_lo, s12, v10
	v_add_co_ci_u32_e64 v11, null, s13, v11, vcc_lo
	s_branch .LBB20_15
.LBB20_14:                              ;   in Loop: Header=BB20_15 Depth=3
	s_or_b32 exec_lo, exec_lo, s24
	s_and_b32 s1, exec_lo, s23
	s_or_b32 s20, s1, s20
	s_andn2_b32 s1, s21, exec_lo
	s_and_b32 s21, s22, exec_lo
	s_or_b32 s21, s1, s21
	s_andn2_b32 exec_lo, exec_lo, s20
	s_cbranch_execz .LBB20_17
.LBB20_15:                              ;   Parent Loop BB20_8 Depth=1
                                        ;     Parent Loop BB20_12 Depth=2
                                        ; =>    This Inner Loop Header: Depth=3
	global_load_dword v12, v[10:11], off
	s_or_b32 s22, s22, exec_lo
	s_or_b32 s23, s23, exec_lo
	s_mov_b32 s24, exec_lo
	s_waitcnt vmcnt(0)
	v_subrev_nc_u32_e32 v12, s7, v12
	v_sub_nc_u32_e32 v13, 0, v12
	v_max_i32_e32 v13, v12, v13
	v_ashrrev_i32_e32 v12, 31, v12
	v_mul_hi_u32 v25, v13, v23
	v_xor_b32_e32 v12, s18, v12
	v_mul_lo_u32 v26, v25, s17
	v_sub_nc_u32_e32 v13, v13, v26
	v_add_nc_u32_e32 v26, 1, v25
	v_subrev_nc_u32_e32 v27, s17, v13
	v_cmp_le_u32_e32 vcc_lo, s17, v13
	v_cndmask_b32_e32 v25, v25, v26, vcc_lo
	v_cndmask_b32_e32 v13, v13, v27, vcc_lo
	v_add_nc_u32_e32 v26, 1, v25
	v_cmp_le_u32_e32 vcc_lo, s17, v13
	v_cndmask_b32_e32 v13, v25, v26, vcc_lo
	v_xor_b32_e32 v13, v13, v12
	v_sub_nc_u32_e32 v25, v13, v12
	v_mov_b32_e32 v13, v9
	v_mov_b32_e32 v12, v8
                                        ; implicit-def: $vgpr8_vgpr9
	v_cmpx_lt_i32_e64 v25, v17
	s_cbranch_execz .LBB20_14
; %bb.16:                               ;   in Loop: Header=BB20_15 Depth=3
	v_add_co_u32 v8, vcc_lo, v12, 1
	v_add_co_ci_u32_e64 v9, null, 0, v13, vcc_lo
	v_add_co_u32 v10, s1, v10, 4
	v_add_co_ci_u32_e64 v11, null, 0, v11, s1
	v_cmp_ge_i64_e32 vcc_lo, v[8:9], v[6:7]
	s_andn2_b32 s1, s23, exec_lo
	s_andn2_b32 s22, s22, exec_lo
	s_and_b32 s23, vcc_lo, exec_lo
	s_or_b32 s23, s1, s23
	s_branch .LBB20_14
.LBB20_17:                              ;   in Loop: Header=BB20_12 Depth=2
	s_or_b32 exec_lo, exec_lo, s20
	s_and_saveexec_b32 s1, s21
	s_xor_b32 s1, exec_lo, s1
	s_cbranch_execz .LBB20_10
; %bb.18:                               ;   in Loop: Header=BB20_12 Depth=2
	v_min_i32_e32 v24, v25, v24
	global_store_dwordx2 v[4:5], v[12:13], off
	s_branch .LBB20_10
.LBB20_19:
	s_or_b32 exec_lo, exec_lo, s10
	v_mov_b32_e32 v4, 0
	s_branch .LBB20_21
.LBB20_20:
	v_mov_b32_e32 v3, 0
	v_mov_b32_e32 v4, 0
.LBB20_21:
	v_cmp_eq_u32_e32 vcc_lo, 31, v0
	s_cmp_lt_i32 s6, s8
	s_cselect_b32 s0, -1, 0
	s_and_b32 s0, vcc_lo, s0
	s_and_saveexec_b32 s1, s0
	s_cbranch_execz .LBB20_23
; %bb.22:
	s_load_dword s0, s[4:5], 0x30
	s_ashr_i32 s7, s6, 31
	v_mov_b32_e32 v1, 0
	s_waitcnt lgkmcnt(0)
	v_mov_b32_e32 v0, s0
	s_lshl_b64 s[0:1], s[6:7], 3
	s_add_u32 s0, s2, s0
	s_addc_u32 s1, s3, s1
	global_store_dwordx2 v1, v[0:1], s[2:3]
	global_store_dwordx2 v1, v[3:4], s[0:1] offset:8
.LBB20_23:
	s_endpgm
	.section	.rodata,"a",@progbits
	.p2align	6, 0x0
	.amdhsa_kernel _ZN9rocsparseL25csr2bsr_nnz_65_inf_kernelILj32EliEEvT1_S1_S1_S1_S1_S1_21rocsparse_index_base_PKT0_PKS1_S2_PS3_S8_
		.amdhsa_group_segment_fixed_size 0
		.amdhsa_private_segment_fixed_size 0
		.amdhsa_kernarg_size 72
		.amdhsa_user_sgpr_count 6
		.amdhsa_user_sgpr_private_segment_buffer 1
		.amdhsa_user_sgpr_dispatch_ptr 0
		.amdhsa_user_sgpr_queue_ptr 0
		.amdhsa_user_sgpr_kernarg_segment_ptr 1
		.amdhsa_user_sgpr_dispatch_id 0
		.amdhsa_user_sgpr_flat_scratch_init 0
		.amdhsa_user_sgpr_private_segment_size 0
		.amdhsa_wavefront_size32 1
		.amdhsa_uses_dynamic_stack 0
		.amdhsa_system_sgpr_private_segment_wavefront_offset 0
		.amdhsa_system_sgpr_workgroup_id_x 1
		.amdhsa_system_sgpr_workgroup_id_y 0
		.amdhsa_system_sgpr_workgroup_id_z 0
		.amdhsa_system_sgpr_workgroup_info 0
		.amdhsa_system_vgpr_workitem_id 0
		.amdhsa_next_free_vgpr 28
		.amdhsa_next_free_sgpr 25
		.amdhsa_reserve_vcc 1
		.amdhsa_reserve_flat_scratch 0
		.amdhsa_float_round_mode_32 0
		.amdhsa_float_round_mode_16_64 0
		.amdhsa_float_denorm_mode_32 3
		.amdhsa_float_denorm_mode_16_64 3
		.amdhsa_dx10_clamp 1
		.amdhsa_ieee_mode 1
		.amdhsa_fp16_overflow 0
		.amdhsa_workgroup_processor_mode 1
		.amdhsa_memory_ordered 1
		.amdhsa_forward_progress 1
		.amdhsa_shared_vgpr_count 0
		.amdhsa_exception_fp_ieee_invalid_op 0
		.amdhsa_exception_fp_denorm_src 0
		.amdhsa_exception_fp_ieee_div_zero 0
		.amdhsa_exception_fp_ieee_overflow 0
		.amdhsa_exception_fp_ieee_underflow 0
		.amdhsa_exception_fp_ieee_inexact 0
		.amdhsa_exception_int_div_zero 0
	.end_amdhsa_kernel
	.section	.text._ZN9rocsparseL25csr2bsr_nnz_65_inf_kernelILj32EliEEvT1_S1_S1_S1_S1_S1_21rocsparse_index_base_PKT0_PKS1_S2_PS3_S8_,"axG",@progbits,_ZN9rocsparseL25csr2bsr_nnz_65_inf_kernelILj32EliEEvT1_S1_S1_S1_S1_S1_21rocsparse_index_base_PKT0_PKS1_S2_PS3_S8_,comdat
.Lfunc_end20:
	.size	_ZN9rocsparseL25csr2bsr_nnz_65_inf_kernelILj32EliEEvT1_S1_S1_S1_S1_S1_21rocsparse_index_base_PKT0_PKS1_S2_PS3_S8_, .Lfunc_end20-_ZN9rocsparseL25csr2bsr_nnz_65_inf_kernelILj32EliEEvT1_S1_S1_S1_S1_S1_21rocsparse_index_base_PKT0_PKS1_S2_PS3_S8_
                                        ; -- End function
	.set _ZN9rocsparseL25csr2bsr_nnz_65_inf_kernelILj32EliEEvT1_S1_S1_S1_S1_S1_21rocsparse_index_base_PKT0_PKS1_S2_PS3_S8_.num_vgpr, 28
	.set _ZN9rocsparseL25csr2bsr_nnz_65_inf_kernelILj32EliEEvT1_S1_S1_S1_S1_S1_21rocsparse_index_base_PKT0_PKS1_S2_PS3_S8_.num_agpr, 0
	.set _ZN9rocsparseL25csr2bsr_nnz_65_inf_kernelILj32EliEEvT1_S1_S1_S1_S1_S1_21rocsparse_index_base_PKT0_PKS1_S2_PS3_S8_.numbered_sgpr, 25
	.set _ZN9rocsparseL25csr2bsr_nnz_65_inf_kernelILj32EliEEvT1_S1_S1_S1_S1_S1_21rocsparse_index_base_PKT0_PKS1_S2_PS3_S8_.num_named_barrier, 0
	.set _ZN9rocsparseL25csr2bsr_nnz_65_inf_kernelILj32EliEEvT1_S1_S1_S1_S1_S1_21rocsparse_index_base_PKT0_PKS1_S2_PS3_S8_.private_seg_size, 0
	.set _ZN9rocsparseL25csr2bsr_nnz_65_inf_kernelILj32EliEEvT1_S1_S1_S1_S1_S1_21rocsparse_index_base_PKT0_PKS1_S2_PS3_S8_.uses_vcc, 1
	.set _ZN9rocsparseL25csr2bsr_nnz_65_inf_kernelILj32EliEEvT1_S1_S1_S1_S1_S1_21rocsparse_index_base_PKT0_PKS1_S2_PS3_S8_.uses_flat_scratch, 0
	.set _ZN9rocsparseL25csr2bsr_nnz_65_inf_kernelILj32EliEEvT1_S1_S1_S1_S1_S1_21rocsparse_index_base_PKT0_PKS1_S2_PS3_S8_.has_dyn_sized_stack, 0
	.set _ZN9rocsparseL25csr2bsr_nnz_65_inf_kernelILj32EliEEvT1_S1_S1_S1_S1_S1_21rocsparse_index_base_PKT0_PKS1_S2_PS3_S8_.has_recursion, 0
	.set _ZN9rocsparseL25csr2bsr_nnz_65_inf_kernelILj32EliEEvT1_S1_S1_S1_S1_S1_21rocsparse_index_base_PKT0_PKS1_S2_PS3_S8_.has_indirect_call, 0
	.section	.AMDGPU.csdata,"",@progbits
; Kernel info:
; codeLenInByte = 1248
; TotalNumSgprs: 27
; NumVgprs: 28
; ScratchSize: 0
; MemoryBound: 0
; FloatMode: 240
; IeeeMode: 1
; LDSByteSize: 0 bytes/workgroup (compile time only)
; SGPRBlocks: 0
; VGPRBlocks: 3
; NumSGPRsForWavesPerEU: 27
; NumVGPRsForWavesPerEU: 28
; Occupancy: 16
; WaveLimiterHint : 0
; COMPUTE_PGM_RSRC2:SCRATCH_EN: 0
; COMPUTE_PGM_RSRC2:USER_SGPR: 6
; COMPUTE_PGM_RSRC2:TRAP_HANDLER: 0
; COMPUTE_PGM_RSRC2:TGID_X_EN: 1
; COMPUTE_PGM_RSRC2:TGID_Y_EN: 0
; COMPUTE_PGM_RSRC2:TGID_Z_EN: 0
; COMPUTE_PGM_RSRC2:TIDIG_COMP_CNT: 0
	.section	.text._ZN9rocsparseL36csr2bsr_nnz_compute_nnz_total_kernelILj1EliEEvT1_PKT0_PS2_,"axG",@progbits,_ZN9rocsparseL36csr2bsr_nnz_compute_nnz_total_kernelILj1EliEEvT1_PKT0_PS2_,comdat
	.globl	_ZN9rocsparseL36csr2bsr_nnz_compute_nnz_total_kernelILj1EliEEvT1_PKT0_PS2_ ; -- Begin function _ZN9rocsparseL36csr2bsr_nnz_compute_nnz_total_kernelILj1EliEEvT1_PKT0_PS2_
	.p2align	8
	.type	_ZN9rocsparseL36csr2bsr_nnz_compute_nnz_total_kernelILj1EliEEvT1_PKT0_PS2_,@function
_ZN9rocsparseL36csr2bsr_nnz_compute_nnz_total_kernelILj1EliEEvT1_PKT0_PS2_: ; @_ZN9rocsparseL36csr2bsr_nnz_compute_nnz_total_kernelILj1EliEEvT1_PKT0_PS2_
; %bb.0:
	s_sub_i32 s0, 0, s6
	s_cmp_lg_u32 s0, 0
	s_cbranch_scc1 .LBB21_2
; %bb.1:
	s_clause 0x1
	s_load_dword s6, s[4:5], 0x0
	s_load_dwordx4 s[0:3], s[4:5], 0x8
	v_mov_b32_e32 v2, 0
	s_waitcnt lgkmcnt(0)
	s_ashr_i32 s7, s6, 31
	s_lshl_b64 s[4:5], s[6:7], 3
	s_add_u32 s4, s0, s4
	s_addc_u32 s5, s1, s5
	s_clause 0x1
	s_load_dwordx2 s[4:5], s[4:5], 0x0
	s_load_dwordx2 s[0:1], s[0:1], 0x0
	s_waitcnt lgkmcnt(0)
	s_sub_u32 s0, s4, s0
	s_subb_u32 s1, s5, s1
	v_mov_b32_e32 v0, s0
	v_mov_b32_e32 v1, s1
	global_store_dwordx2 v2, v[0:1], s[2:3]
.LBB21_2:
	s_endpgm
	.section	.rodata,"a",@progbits
	.p2align	6, 0x0
	.amdhsa_kernel _ZN9rocsparseL36csr2bsr_nnz_compute_nnz_total_kernelILj1EliEEvT1_PKT0_PS2_
		.amdhsa_group_segment_fixed_size 0
		.amdhsa_private_segment_fixed_size 0
		.amdhsa_kernarg_size 24
		.amdhsa_user_sgpr_count 6
		.amdhsa_user_sgpr_private_segment_buffer 1
		.amdhsa_user_sgpr_dispatch_ptr 0
		.amdhsa_user_sgpr_queue_ptr 0
		.amdhsa_user_sgpr_kernarg_segment_ptr 1
		.amdhsa_user_sgpr_dispatch_id 0
		.amdhsa_user_sgpr_flat_scratch_init 0
		.amdhsa_user_sgpr_private_segment_size 0
		.amdhsa_wavefront_size32 1
		.amdhsa_uses_dynamic_stack 0
		.amdhsa_system_sgpr_private_segment_wavefront_offset 0
		.amdhsa_system_sgpr_workgroup_id_x 1
		.amdhsa_system_sgpr_workgroup_id_y 0
		.amdhsa_system_sgpr_workgroup_id_z 0
		.amdhsa_system_sgpr_workgroup_info 0
		.amdhsa_system_vgpr_workitem_id 0
		.amdhsa_next_free_vgpr 3
		.amdhsa_next_free_sgpr 8
		.amdhsa_reserve_vcc 0
		.amdhsa_reserve_flat_scratch 0
		.amdhsa_float_round_mode_32 0
		.amdhsa_float_round_mode_16_64 0
		.amdhsa_float_denorm_mode_32 3
		.amdhsa_float_denorm_mode_16_64 3
		.amdhsa_dx10_clamp 1
		.amdhsa_ieee_mode 1
		.amdhsa_fp16_overflow 0
		.amdhsa_workgroup_processor_mode 1
		.amdhsa_memory_ordered 1
		.amdhsa_forward_progress 1
		.amdhsa_shared_vgpr_count 0
		.amdhsa_exception_fp_ieee_invalid_op 0
		.amdhsa_exception_fp_denorm_src 0
		.amdhsa_exception_fp_ieee_div_zero 0
		.amdhsa_exception_fp_ieee_overflow 0
		.amdhsa_exception_fp_ieee_underflow 0
		.amdhsa_exception_fp_ieee_inexact 0
		.amdhsa_exception_int_div_zero 0
	.end_amdhsa_kernel
	.section	.text._ZN9rocsparseL36csr2bsr_nnz_compute_nnz_total_kernelILj1EliEEvT1_PKT0_PS2_,"axG",@progbits,_ZN9rocsparseL36csr2bsr_nnz_compute_nnz_total_kernelILj1EliEEvT1_PKT0_PS2_,comdat
.Lfunc_end21:
	.size	_ZN9rocsparseL36csr2bsr_nnz_compute_nnz_total_kernelILj1EliEEvT1_PKT0_PS2_, .Lfunc_end21-_ZN9rocsparseL36csr2bsr_nnz_compute_nnz_total_kernelILj1EliEEvT1_PKT0_PS2_
                                        ; -- End function
	.set _ZN9rocsparseL36csr2bsr_nnz_compute_nnz_total_kernelILj1EliEEvT1_PKT0_PS2_.num_vgpr, 3
	.set _ZN9rocsparseL36csr2bsr_nnz_compute_nnz_total_kernelILj1EliEEvT1_PKT0_PS2_.num_agpr, 0
	.set _ZN9rocsparseL36csr2bsr_nnz_compute_nnz_total_kernelILj1EliEEvT1_PKT0_PS2_.numbered_sgpr, 8
	.set _ZN9rocsparseL36csr2bsr_nnz_compute_nnz_total_kernelILj1EliEEvT1_PKT0_PS2_.num_named_barrier, 0
	.set _ZN9rocsparseL36csr2bsr_nnz_compute_nnz_total_kernelILj1EliEEvT1_PKT0_PS2_.private_seg_size, 0
	.set _ZN9rocsparseL36csr2bsr_nnz_compute_nnz_total_kernelILj1EliEEvT1_PKT0_PS2_.uses_vcc, 0
	.set _ZN9rocsparseL36csr2bsr_nnz_compute_nnz_total_kernelILj1EliEEvT1_PKT0_PS2_.uses_flat_scratch, 0
	.set _ZN9rocsparseL36csr2bsr_nnz_compute_nnz_total_kernelILj1EliEEvT1_PKT0_PS2_.has_dyn_sized_stack, 0
	.set _ZN9rocsparseL36csr2bsr_nnz_compute_nnz_total_kernelILj1EliEEvT1_PKT0_PS2_.has_recursion, 0
	.set _ZN9rocsparseL36csr2bsr_nnz_compute_nnz_total_kernelILj1EliEEvT1_PKT0_PS2_.has_indirect_call, 0
	.section	.AMDGPU.csdata,"",@progbits
; Kernel info:
; codeLenInByte = 108
; TotalNumSgprs: 8
; NumVgprs: 3
; ScratchSize: 0
; MemoryBound: 0
; FloatMode: 240
; IeeeMode: 1
; LDSByteSize: 0 bytes/workgroup (compile time only)
; SGPRBlocks: 0
; VGPRBlocks: 0
; NumSGPRsForWavesPerEU: 8
; NumVGPRsForWavesPerEU: 3
; Occupancy: 16
; WaveLimiterHint : 0
; COMPUTE_PGM_RSRC2:SCRATCH_EN: 0
; COMPUTE_PGM_RSRC2:USER_SGPR: 6
; COMPUTE_PGM_RSRC2:TRAP_HANDLER: 0
; COMPUTE_PGM_RSRC2:TGID_X_EN: 1
; COMPUTE_PGM_RSRC2:TGID_Y_EN: 0
; COMPUTE_PGM_RSRC2:TGID_Z_EN: 0
; COMPUTE_PGM_RSRC2:TIDIG_COMP_CNT: 0
	.section	.text._ZN9rocsparseL39csr2bsr_nnz_block_dim_equals_one_kernelILj256EilEEvT1_21rocsparse_index_base_PKT0_S2_PS3_S6_,"axG",@progbits,_ZN9rocsparseL39csr2bsr_nnz_block_dim_equals_one_kernelILj256EilEEvT1_21rocsparse_index_base_PKT0_S2_PS3_S6_,comdat
	.globl	_ZN9rocsparseL39csr2bsr_nnz_block_dim_equals_one_kernelILj256EilEEvT1_21rocsparse_index_base_PKT0_S2_PS3_S6_ ; -- Begin function _ZN9rocsparseL39csr2bsr_nnz_block_dim_equals_one_kernelILj256EilEEvT1_21rocsparse_index_base_PKT0_S2_PS3_S6_
	.p2align	8
	.type	_ZN9rocsparseL39csr2bsr_nnz_block_dim_equals_one_kernelILj256EilEEvT1_21rocsparse_index_base_PKT0_S2_PS3_S6_,@function
_ZN9rocsparseL39csr2bsr_nnz_block_dim_equals_one_kernelILj256EilEEvT1_21rocsparse_index_base_PKT0_S2_PS3_S6_: ; @_ZN9rocsparseL39csr2bsr_nnz_block_dim_equals_one_kernelILj256EilEEvT1_21rocsparse_index_base_PKT0_S2_PS3_S6_
; %bb.0:
	s_clause 0x2
	s_load_dword s7, s[4:5], 0x3c
	s_load_dwordx2 s[2:3], s[4:5], 0x0
	s_load_dwordx2 s[0:1], s[4:5], 0x10
	s_waitcnt lgkmcnt(0)
	s_and_b32 s7, s7, 0xffff
	v_mad_u64_u32 v[0:1], null, s6, s7, v[0:1]
	v_mov_b32_e32 v1, 0
	s_mov_b32 s6, exec_lo
	v_cmpx_ge_i64_e64 s[2:3], v[0:1]
	s_cbranch_execz .LBB22_2
; %bb.1:
	v_lshlrev_b64 v[1:2], 2, v[0:1]
	v_add_co_u32 v3, vcc_lo, s0, v1
	v_add_co_ci_u32_e64 v4, null, s1, v2, vcc_lo
	global_load_dword v3, v[3:4], off
	s_clause 0x2
	s_load_dword s7, s[4:5], 0x8
	s_load_dword s10, s[4:5], 0x18
	s_load_dwordx2 s[8:9], s[4:5], 0x20
	s_waitcnt lgkmcnt(0)
	s_sub_i32 s7, s10, s7
	v_add_co_u32 v1, vcc_lo, s8, v1
	v_add_co_ci_u32_e64 v2, null, s9, v2, vcc_lo
	s_waitcnt vmcnt(0)
	v_add_nc_u32_e32 v3, s7, v3
	global_store_dword v[1:2], v3, off
.LBB22_2:
	s_or_b32 exec_lo, exec_lo, s6
	s_mov_b32 s6, exec_lo
	v_cmpx_eq_u32_e32 0, v0
	s_cbranch_execz .LBB22_4
; %bb.3:
	s_lshl_b64 s[2:3], s[2:3], 2
	v_mov_b32_e32 v0, 0
	s_add_u32 s2, s0, s2
	s_addc_u32 s3, s1, s3
	s_clause 0x1
	s_load_dword s2, s[2:3], 0x0
	s_load_dword s3, s[0:1], 0x0
	s_load_dwordx2 s[0:1], s[4:5], 0x28
	s_waitcnt lgkmcnt(0)
	s_sub_i32 s2, s2, s3
	v_mov_b32_e32 v1, s2
	global_store_dword v0, v1, s[0:1]
.LBB22_4:
	s_endpgm
	.section	.rodata,"a",@progbits
	.p2align	6, 0x0
	.amdhsa_kernel _ZN9rocsparseL39csr2bsr_nnz_block_dim_equals_one_kernelILj256EilEEvT1_21rocsparse_index_base_PKT0_S2_PS3_S6_
		.amdhsa_group_segment_fixed_size 0
		.amdhsa_private_segment_fixed_size 0
		.amdhsa_kernarg_size 304
		.amdhsa_user_sgpr_count 6
		.amdhsa_user_sgpr_private_segment_buffer 1
		.amdhsa_user_sgpr_dispatch_ptr 0
		.amdhsa_user_sgpr_queue_ptr 0
		.amdhsa_user_sgpr_kernarg_segment_ptr 1
		.amdhsa_user_sgpr_dispatch_id 0
		.amdhsa_user_sgpr_flat_scratch_init 0
		.amdhsa_user_sgpr_private_segment_size 0
		.amdhsa_wavefront_size32 1
		.amdhsa_uses_dynamic_stack 0
		.amdhsa_system_sgpr_private_segment_wavefront_offset 0
		.amdhsa_system_sgpr_workgroup_id_x 1
		.amdhsa_system_sgpr_workgroup_id_y 0
		.amdhsa_system_sgpr_workgroup_id_z 0
		.amdhsa_system_sgpr_workgroup_info 0
		.amdhsa_system_vgpr_workitem_id 0
		.amdhsa_next_free_vgpr 5
		.amdhsa_next_free_sgpr 11
		.amdhsa_reserve_vcc 1
		.amdhsa_reserve_flat_scratch 0
		.amdhsa_float_round_mode_32 0
		.amdhsa_float_round_mode_16_64 0
		.amdhsa_float_denorm_mode_32 3
		.amdhsa_float_denorm_mode_16_64 3
		.amdhsa_dx10_clamp 1
		.amdhsa_ieee_mode 1
		.amdhsa_fp16_overflow 0
		.amdhsa_workgroup_processor_mode 1
		.amdhsa_memory_ordered 1
		.amdhsa_forward_progress 1
		.amdhsa_shared_vgpr_count 0
		.amdhsa_exception_fp_ieee_invalid_op 0
		.amdhsa_exception_fp_denorm_src 0
		.amdhsa_exception_fp_ieee_div_zero 0
		.amdhsa_exception_fp_ieee_overflow 0
		.amdhsa_exception_fp_ieee_underflow 0
		.amdhsa_exception_fp_ieee_inexact 0
		.amdhsa_exception_int_div_zero 0
	.end_amdhsa_kernel
	.section	.text._ZN9rocsparseL39csr2bsr_nnz_block_dim_equals_one_kernelILj256EilEEvT1_21rocsparse_index_base_PKT0_S2_PS3_S6_,"axG",@progbits,_ZN9rocsparseL39csr2bsr_nnz_block_dim_equals_one_kernelILj256EilEEvT1_21rocsparse_index_base_PKT0_S2_PS3_S6_,comdat
.Lfunc_end22:
	.size	_ZN9rocsparseL39csr2bsr_nnz_block_dim_equals_one_kernelILj256EilEEvT1_21rocsparse_index_base_PKT0_S2_PS3_S6_, .Lfunc_end22-_ZN9rocsparseL39csr2bsr_nnz_block_dim_equals_one_kernelILj256EilEEvT1_21rocsparse_index_base_PKT0_S2_PS3_S6_
                                        ; -- End function
	.set _ZN9rocsparseL39csr2bsr_nnz_block_dim_equals_one_kernelILj256EilEEvT1_21rocsparse_index_base_PKT0_S2_PS3_S6_.num_vgpr, 5
	.set _ZN9rocsparseL39csr2bsr_nnz_block_dim_equals_one_kernelILj256EilEEvT1_21rocsparse_index_base_PKT0_S2_PS3_S6_.num_agpr, 0
	.set _ZN9rocsparseL39csr2bsr_nnz_block_dim_equals_one_kernelILj256EilEEvT1_21rocsparse_index_base_PKT0_S2_PS3_S6_.numbered_sgpr, 11
	.set _ZN9rocsparseL39csr2bsr_nnz_block_dim_equals_one_kernelILj256EilEEvT1_21rocsparse_index_base_PKT0_S2_PS3_S6_.num_named_barrier, 0
	.set _ZN9rocsparseL39csr2bsr_nnz_block_dim_equals_one_kernelILj256EilEEvT1_21rocsparse_index_base_PKT0_S2_PS3_S6_.private_seg_size, 0
	.set _ZN9rocsparseL39csr2bsr_nnz_block_dim_equals_one_kernelILj256EilEEvT1_21rocsparse_index_base_PKT0_S2_PS3_S6_.uses_vcc, 1
	.set _ZN9rocsparseL39csr2bsr_nnz_block_dim_equals_one_kernelILj256EilEEvT1_21rocsparse_index_base_PKT0_S2_PS3_S6_.uses_flat_scratch, 0
	.set _ZN9rocsparseL39csr2bsr_nnz_block_dim_equals_one_kernelILj256EilEEvT1_21rocsparse_index_base_PKT0_S2_PS3_S6_.has_dyn_sized_stack, 0
	.set _ZN9rocsparseL39csr2bsr_nnz_block_dim_equals_one_kernelILj256EilEEvT1_21rocsparse_index_base_PKT0_S2_PS3_S6_.has_recursion, 0
	.set _ZN9rocsparseL39csr2bsr_nnz_block_dim_equals_one_kernelILj256EilEEvT1_21rocsparse_index_base_PKT0_S2_PS3_S6_.has_indirect_call, 0
	.section	.AMDGPU.csdata,"",@progbits
; Kernel info:
; codeLenInByte = 252
; TotalNumSgprs: 13
; NumVgprs: 5
; ScratchSize: 0
; MemoryBound: 0
; FloatMode: 240
; IeeeMode: 1
; LDSByteSize: 0 bytes/workgroup (compile time only)
; SGPRBlocks: 0
; VGPRBlocks: 0
; NumSGPRsForWavesPerEU: 13
; NumVGPRsForWavesPerEU: 5
; Occupancy: 16
; WaveLimiterHint : 0
; COMPUTE_PGM_RSRC2:SCRATCH_EN: 0
; COMPUTE_PGM_RSRC2:USER_SGPR: 6
; COMPUTE_PGM_RSRC2:TRAP_HANDLER: 0
; COMPUTE_PGM_RSRC2:TGID_X_EN: 1
; COMPUTE_PGM_RSRC2:TGID_Y_EN: 0
; COMPUTE_PGM_RSRC2:TGID_Z_EN: 0
; COMPUTE_PGM_RSRC2:TIDIG_COMP_CNT: 0
	.section	.text._ZN9rocsparseL39csr2bsr_nnz_block_dim_equals_one_kernelILj256EilEEvT1_21rocsparse_index_base_PKT0_S2_PS3_,"axG",@progbits,_ZN9rocsparseL39csr2bsr_nnz_block_dim_equals_one_kernelILj256EilEEvT1_21rocsparse_index_base_PKT0_S2_PS3_,comdat
	.globl	_ZN9rocsparseL39csr2bsr_nnz_block_dim_equals_one_kernelILj256EilEEvT1_21rocsparse_index_base_PKT0_S2_PS3_ ; -- Begin function _ZN9rocsparseL39csr2bsr_nnz_block_dim_equals_one_kernelILj256EilEEvT1_21rocsparse_index_base_PKT0_S2_PS3_
	.p2align	8
	.type	_ZN9rocsparseL39csr2bsr_nnz_block_dim_equals_one_kernelILj256EilEEvT1_21rocsparse_index_base_PKT0_S2_PS3_,@function
_ZN9rocsparseL39csr2bsr_nnz_block_dim_equals_one_kernelILj256EilEEvT1_21rocsparse_index_base_PKT0_S2_PS3_: ; @_ZN9rocsparseL39csr2bsr_nnz_block_dim_equals_one_kernelILj256EilEEvT1_21rocsparse_index_base_PKT0_S2_PS3_
; %bb.0:
	s_load_dwordx2 s[0:1], s[4:5], 0x0
	v_lshl_or_b32 v0, s6, 8, v0
	v_mov_b32_e32 v1, 0
	s_waitcnt lgkmcnt(0)
	v_cmp_ge_i64_e32 vcc_lo, s[0:1], v[0:1]
	s_and_saveexec_b32 s0, vcc_lo
	s_cbranch_execz .LBB23_2
; %bb.1:
	s_load_dwordx2 s[0:1], s[4:5], 0x10
	v_lshlrev_b64 v[0:1], 2, v[0:1]
	s_clause 0x1
	s_load_dword s2, s[4:5], 0x18
	s_load_dword s3, s[4:5], 0x8
	s_waitcnt lgkmcnt(0)
	v_add_co_u32 v2, vcc_lo, s0, v0
	v_add_co_ci_u32_e64 v3, null, s1, v1, vcc_lo
	s_load_dwordx2 s[0:1], s[4:5], 0x20
	s_sub_i32 s2, s2, s3
	global_load_dword v2, v[2:3], off
	s_waitcnt lgkmcnt(0)
	v_add_co_u32 v0, vcc_lo, s0, v0
	v_add_co_ci_u32_e64 v1, null, s1, v1, vcc_lo
	s_waitcnt vmcnt(0)
	v_add_nc_u32_e32 v2, s2, v2
	global_store_dword v[0:1], v2, off
.LBB23_2:
	s_endpgm
	.section	.rodata,"a",@progbits
	.p2align	6, 0x0
	.amdhsa_kernel _ZN9rocsparseL39csr2bsr_nnz_block_dim_equals_one_kernelILj256EilEEvT1_21rocsparse_index_base_PKT0_S2_PS3_
		.amdhsa_group_segment_fixed_size 0
		.amdhsa_private_segment_fixed_size 0
		.amdhsa_kernarg_size 40
		.amdhsa_user_sgpr_count 6
		.amdhsa_user_sgpr_private_segment_buffer 1
		.amdhsa_user_sgpr_dispatch_ptr 0
		.amdhsa_user_sgpr_queue_ptr 0
		.amdhsa_user_sgpr_kernarg_segment_ptr 1
		.amdhsa_user_sgpr_dispatch_id 0
		.amdhsa_user_sgpr_flat_scratch_init 0
		.amdhsa_user_sgpr_private_segment_size 0
		.amdhsa_wavefront_size32 1
		.amdhsa_uses_dynamic_stack 0
		.amdhsa_system_sgpr_private_segment_wavefront_offset 0
		.amdhsa_system_sgpr_workgroup_id_x 1
		.amdhsa_system_sgpr_workgroup_id_y 0
		.amdhsa_system_sgpr_workgroup_id_z 0
		.amdhsa_system_sgpr_workgroup_info 0
		.amdhsa_system_vgpr_workitem_id 0
		.amdhsa_next_free_vgpr 4
		.amdhsa_next_free_sgpr 7
		.amdhsa_reserve_vcc 1
		.amdhsa_reserve_flat_scratch 0
		.amdhsa_float_round_mode_32 0
		.amdhsa_float_round_mode_16_64 0
		.amdhsa_float_denorm_mode_32 3
		.amdhsa_float_denorm_mode_16_64 3
		.amdhsa_dx10_clamp 1
		.amdhsa_ieee_mode 1
		.amdhsa_fp16_overflow 0
		.amdhsa_workgroup_processor_mode 1
		.amdhsa_memory_ordered 1
		.amdhsa_forward_progress 1
		.amdhsa_shared_vgpr_count 0
		.amdhsa_exception_fp_ieee_invalid_op 0
		.amdhsa_exception_fp_denorm_src 0
		.amdhsa_exception_fp_ieee_div_zero 0
		.amdhsa_exception_fp_ieee_overflow 0
		.amdhsa_exception_fp_ieee_underflow 0
		.amdhsa_exception_fp_ieee_inexact 0
		.amdhsa_exception_int_div_zero 0
	.end_amdhsa_kernel
	.section	.text._ZN9rocsparseL39csr2bsr_nnz_block_dim_equals_one_kernelILj256EilEEvT1_21rocsparse_index_base_PKT0_S2_PS3_,"axG",@progbits,_ZN9rocsparseL39csr2bsr_nnz_block_dim_equals_one_kernelILj256EilEEvT1_21rocsparse_index_base_PKT0_S2_PS3_,comdat
.Lfunc_end23:
	.size	_ZN9rocsparseL39csr2bsr_nnz_block_dim_equals_one_kernelILj256EilEEvT1_21rocsparse_index_base_PKT0_S2_PS3_, .Lfunc_end23-_ZN9rocsparseL39csr2bsr_nnz_block_dim_equals_one_kernelILj256EilEEvT1_21rocsparse_index_base_PKT0_S2_PS3_
                                        ; -- End function
	.set _ZN9rocsparseL39csr2bsr_nnz_block_dim_equals_one_kernelILj256EilEEvT1_21rocsparse_index_base_PKT0_S2_PS3_.num_vgpr, 4
	.set _ZN9rocsparseL39csr2bsr_nnz_block_dim_equals_one_kernelILj256EilEEvT1_21rocsparse_index_base_PKT0_S2_PS3_.num_agpr, 0
	.set _ZN9rocsparseL39csr2bsr_nnz_block_dim_equals_one_kernelILj256EilEEvT1_21rocsparse_index_base_PKT0_S2_PS3_.numbered_sgpr, 7
	.set _ZN9rocsparseL39csr2bsr_nnz_block_dim_equals_one_kernelILj256EilEEvT1_21rocsparse_index_base_PKT0_S2_PS3_.num_named_barrier, 0
	.set _ZN9rocsparseL39csr2bsr_nnz_block_dim_equals_one_kernelILj256EilEEvT1_21rocsparse_index_base_PKT0_S2_PS3_.private_seg_size, 0
	.set _ZN9rocsparseL39csr2bsr_nnz_block_dim_equals_one_kernelILj256EilEEvT1_21rocsparse_index_base_PKT0_S2_PS3_.uses_vcc, 1
	.set _ZN9rocsparseL39csr2bsr_nnz_block_dim_equals_one_kernelILj256EilEEvT1_21rocsparse_index_base_PKT0_S2_PS3_.uses_flat_scratch, 0
	.set _ZN9rocsparseL39csr2bsr_nnz_block_dim_equals_one_kernelILj256EilEEvT1_21rocsparse_index_base_PKT0_S2_PS3_.has_dyn_sized_stack, 0
	.set _ZN9rocsparseL39csr2bsr_nnz_block_dim_equals_one_kernelILj256EilEEvT1_21rocsparse_index_base_PKT0_S2_PS3_.has_recursion, 0
	.set _ZN9rocsparseL39csr2bsr_nnz_block_dim_equals_one_kernelILj256EilEEvT1_21rocsparse_index_base_PKT0_S2_PS3_.has_indirect_call, 0
	.section	.AMDGPU.csdata,"",@progbits
; Kernel info:
; codeLenInByte = 152
; TotalNumSgprs: 9
; NumVgprs: 4
; ScratchSize: 0
; MemoryBound: 0
; FloatMode: 240
; IeeeMode: 1
; LDSByteSize: 0 bytes/workgroup (compile time only)
; SGPRBlocks: 0
; VGPRBlocks: 0
; NumSGPRsForWavesPerEU: 9
; NumVGPRsForWavesPerEU: 4
; Occupancy: 16
; WaveLimiterHint : 0
; COMPUTE_PGM_RSRC2:SCRATCH_EN: 0
; COMPUTE_PGM_RSRC2:USER_SGPR: 6
; COMPUTE_PGM_RSRC2:TRAP_HANDLER: 0
; COMPUTE_PGM_RSRC2:TGID_X_EN: 1
; COMPUTE_PGM_RSRC2:TGID_Y_EN: 0
; COMPUTE_PGM_RSRC2:TGID_Z_EN: 0
; COMPUTE_PGM_RSRC2:TIDIG_COMP_CNT: 0
	.section	.text._ZN9rocsparseL46csr2bsr_nnz_wavefront_per_row_multipass_kernelILj256ELj16ELj4EilEEvT3_S1_S1_S1_S1_21rocsparse_index_base_PKT2_PKS1_S2_PS3_,"axG",@progbits,_ZN9rocsparseL46csr2bsr_nnz_wavefront_per_row_multipass_kernelILj256ELj16ELj4EilEEvT3_S1_S1_S1_S1_21rocsparse_index_base_PKT2_PKS1_S2_PS3_,comdat
	.globl	_ZN9rocsparseL46csr2bsr_nnz_wavefront_per_row_multipass_kernelILj256ELj16ELj4EilEEvT3_S1_S1_S1_S1_21rocsparse_index_base_PKT2_PKS1_S2_PS3_ ; -- Begin function _ZN9rocsparseL46csr2bsr_nnz_wavefront_per_row_multipass_kernelILj256ELj16ELj4EilEEvT3_S1_S1_S1_S1_21rocsparse_index_base_PKT2_PKS1_S2_PS3_
	.p2align	8
	.type	_ZN9rocsparseL46csr2bsr_nnz_wavefront_per_row_multipass_kernelILj256ELj16ELj4EilEEvT3_S1_S1_S1_S1_21rocsparse_index_base_PKT2_PKS1_S2_PS3_,@function
_ZN9rocsparseL46csr2bsr_nnz_wavefront_per_row_multipass_kernelILj256ELj16ELj4EilEEvT3_S1_S1_S1_S1_21rocsparse_index_base_PKT2_PKS1_S2_PS3_: ; @_ZN9rocsparseL46csr2bsr_nnz_wavefront_per_row_multipass_kernelILj256ELj16ELj4EilEEvT3_S1_S1_S1_S1_21rocsparse_index_base_PKT2_PKS1_S2_PS3_
; %bb.0:
	s_load_dwordx2 s[2:3], s[4:5], 0x20
	v_lshrrev_b32_e32 v10, 4, v0
	s_ashr_i32 s7, s6, 31
	s_clause 0x1
	s_load_dwordx2 s[14:15], s[4:5], 0x0
	s_load_dwordx4 s[8:11], s[4:5], 0x10
	s_lshl_b64 s[0:1], s[6:7], 4
	v_mov_b32_e32 v2, 0
	v_or_b32_e32 v3, s0, v10
	v_bfe_u32 v1, v0, 2, 2
	s_clause 0x1
	s_load_dword s7, s[4:5], 0x28
	s_load_dwordx2 s[12:13], s[4:5], 0x30
	v_lshlrev_b32_e32 v11, 3, v10
	v_mov_b32_e32 v6, v2
	s_waitcnt lgkmcnt(0)
	v_mul_lo_u32 v5, v3, s3
	v_mad_u64_u32 v[3:4], null, v3, s2, v[1:2]
	s_mul_i32 s0, s1, s2
	v_add3_u32 v4, s0, v4, v5
	v_cmp_gt_i64_e64 s0, s[2:3], v[1:2]
	v_mov_b32_e32 v5, v2
	v_mov_b32_e32 v1, 0
	v_cmp_gt_i64_e32 vcc_lo, s[14:15], v[3:4]
	ds_write_b64 v11, v[5:6]
	s_waitcnt lgkmcnt(0)
	s_barrier
	buffer_gl0_inv
	s_and_b32 s0, s0, vcc_lo
	s_and_saveexec_b32 s1, s0
	s_cbranch_execz .LBB24_2
; %bb.1:
	v_lshlrev_b64 v[5:6], 2, v[3:4]
	v_add_co_u32 v5, vcc_lo, s12, v5
	v_add_co_ci_u32_e64 v6, null, s13, v6, vcc_lo
	global_load_dword v1, v[5:6], off
	s_waitcnt vmcnt(0)
	v_subrev_nc_u32_e32 v1, s7, v1
.LBB24_2:
	s_or_b32 exec_lo, exec_lo, s1
	s_and_saveexec_b32 s1, s0
	s_cbranch_execz .LBB24_4
; %bb.3:
	v_lshlrev_b64 v[2:3], 2, v[3:4]
	v_add_co_u32 v2, vcc_lo, s12, v2
	v_add_co_ci_u32_e64 v3, null, s13, v3, vcc_lo
	global_load_dword v2, v[2:3], off offset:4
	s_waitcnt vmcnt(0)
	v_subrev_nc_u32_e32 v2, s7, v2
.LBB24_4:
	s_or_b32 exec_lo, exec_lo, s1
	v_cmp_lt_i64_e64 s0, s[10:11], 1
	v_and_b32_e32 v12, 15, v0
	s_and_b32 vcc_lo, exec_lo, s0
	v_cmp_eq_u32_e64 s0, 0, v12
	s_cbranch_vccnz .LBB24_22
; %bb.5:
	v_mbcnt_lo_u32_b32 v3, -1, 0
	v_and_b32_e32 v13, 3, v0
	s_load_dwordx2 s[12:13], s[4:5], 0x38
	v_mov_b32_e32 v20, 1
	s_mov_b32 s18, 0
	v_xor_b32_e32 v4, 2, v3
	v_xor_b32_e32 v0, 1, v3
	;; [unrolled: 1-line block ×4, first 2 shown]
	v_lshlrev_b32_e32 v7, 2, v3
	v_cmp_gt_i32_e32 vcc_lo, 32, v4
	s_ashr_i32 s14, s3, 31
	s_sub_i32 s19, 0, s2
	v_or_b32_e32 v16, 12, v7
	v_cndmask_b32_e32 v4, v3, v4, vcc_lo
	v_cmp_gt_i32_e32 vcc_lo, 32, v0
	v_or_b32_e32 v19, 60, v7
	v_lshlrev_b32_e32 v14, 2, v4
	v_cndmask_b32_e32 v0, v3, v0, vcc_lo
	v_cmp_gt_i32_e32 vcc_lo, 32, v5
	v_lshlrev_b32_e32 v15, 2, v0
	v_cndmask_b32_e32 v5, v3, v5, vcc_lo
	v_cmp_gt_i32_e32 vcc_lo, 32, v6
	v_mov_b32_e32 v0, 0
	v_lshlrev_b32_e32 v17, 2, v5
	v_cndmask_b32_e32 v3, v3, v6, vcc_lo
	v_mov_b32_e32 v5, 0
	v_mov_b32_e32 v6, 0
	v_lshlrev_b32_e32 v18, 2, v3
	s_branch .LBB24_7
.LBB24_6:                               ;   in Loop: Header=BB24_7 Depth=1
	s_or_b32 exec_lo, exec_lo, s1
	ds_bpermute_b32 v5, v17, v3
	ds_bpermute_b32 v6, v17, v4
	s_waitcnt lgkmcnt(0)
	buffer_gl0_inv
	v_cmp_lt_i64_e32 vcc_lo, v[5:6], v[3:4]
	v_cndmask_b32_e32 v4, v4, v6, vcc_lo
	v_cndmask_b32_e32 v3, v3, v5, vcc_lo
	ds_bpermute_b32 v6, v18, v4
	ds_bpermute_b32 v5, v18, v3
	s_waitcnt lgkmcnt(0)
	v_cmp_lt_i64_e32 vcc_lo, v[5:6], v[3:4]
	v_cndmask_b32_e32 v4, v4, v6, vcc_lo
	v_cndmask_b32_e32 v3, v3, v5, vcc_lo
	ds_bpermute_b32 v6, v14, v4
	ds_bpermute_b32 v5, v14, v3
	s_waitcnt lgkmcnt(0)
	;; [unrolled: 6-line block ×3, first 2 shown]
	v_cmp_lt_i64_e32 vcc_lo, v[5:6], v[3:4]
	v_cndmask_b32_e32 v3, v3, v5, vcc_lo
	ds_bpermute_b32 v5, v19, v3
	s_waitcnt lgkmcnt(0)
	v_ashrrev_i32_e32 v6, 31, v5
	v_cmp_le_i64_e32 vcc_lo, s[10:11], v[5:6]
	s_or_b32 s18, vcc_lo, s18
	s_andn2_b32 exec_lo, exec_lo, s18
	s_cbranch_execz .LBB24_21
.LBB24_7:                               ; =>This Loop Header: Depth=1
                                        ;     Child Loop BB24_10 Depth 2
	v_mov_b32_e32 v3, s10
	v_add_nc_u32_e32 v7, v1, v13
	v_mov_b32_e32 v4, s11
	v_mov_b32_e32 v1, v2
	s_mov_b32 s20, exec_lo
	ds_write_b8 v10, v0 offset:128
	s_waitcnt lgkmcnt(0)
	buffer_gl0_inv
	v_cmpx_lt_i32_e64 v7, v2
	s_cbranch_execz .LBB24_19
; %bb.8:                                ;   in Loop: Header=BB24_7 Depth=1
	v_mov_b32_e32 v3, s10
	v_mov_b32_e32 v4, s11
	;; [unrolled: 1-line block ×3, first 2 shown]
	s_mov_b32 s21, 0
	s_branch .LBB24_10
.LBB24_9:                               ;   in Loop: Header=BB24_10 Depth=2
	s_or_b32 exec_lo, exec_lo, s1
	v_add_nc_u32_e32 v7, 4, v7
	s_xor_b32 s15, vcc_lo, -1
	v_mov_b32_e32 v21, v1
	v_cmp_ge_i32_e64 s1, v7, v2
	s_or_b32 s1, s15, s1
	s_and_b32 s1, exec_lo, s1
	s_or_b32 s21, s1, s21
	s_andn2_b32 exec_lo, exec_lo, s21
	s_cbranch_execz .LBB24_18
.LBB24_10:                              ;   Parent Loop BB24_7 Depth=1
                                        ; =>  This Inner Loop Header: Depth=2
	v_ashrrev_i32_e32 v8, 31, v7
	s_mov_b32 s1, exec_lo
	v_lshlrev_b64 v[8:9], 3, v[7:8]
	v_add_co_u32 v8, vcc_lo, s12, v8
	v_add_co_ci_u32_e64 v9, null, s13, v9, vcc_lo
	global_load_dwordx2 v[8:9], v[8:9], off
	s_waitcnt vmcnt(0)
	v_sub_co_u32 v22, vcc_lo, v8, s7
	v_subrev_co_ci_u32_e64 v23, null, 0, v9, vcc_lo
                                        ; implicit-def: $vgpr8_vgpr9
	v_or_b32_e32 v1, s3, v23
	v_cmpx_ne_u64_e32 0, v[0:1]
	s_xor_b32 s22, exec_lo, s1
	s_cbranch_execz .LBB24_12
; %bb.11:                               ;   in Loop: Header=BB24_10 Depth=2
	s_add_u32 s16, s2, s14
	s_mov_b32 s15, s14
	s_addc_u32 s17, s3, s14
	v_ashrrev_i32_e32 v26, 31, v23
	s_xor_b64 s[16:17], s[16:17], s[14:15]
	v_cvt_f32_u32_e32 v1, s16
	v_cvt_f32_u32_e32 v8, s17
	s_sub_u32 s1, 0, s16
	s_subb_u32 s24, 0, s17
	v_add_co_u32 v9, vcc_lo, v22, v26
	v_fmac_f32_e32 v1, 0x4f800000, v8
	v_xor_b32_e32 v27, v9, v26
	v_rcp_f32_e32 v1, v1
	v_mul_f32_e32 v1, 0x5f7ffffc, v1
	v_mul_f32_e32 v8, 0x2f800000, v1
	v_trunc_f32_e32 v8, v8
	v_fmac_f32_e32 v1, 0xcf800000, v8
	v_cvt_u32_f32_e32 v8, v8
	v_cvt_u32_f32_e32 v1, v1
	v_readfirstlane_b32 s15, v8
	v_readfirstlane_b32 s23, v1
	s_mul_i32 s25, s1, s15
	v_add_co_ci_u32_e64 v1, null, v23, v26, vcc_lo
	s_mul_hi_u32 s27, s1, s23
	s_mul_i32 s26, s24, s23
	s_add_i32 s25, s27, s25
	s_mul_i32 s28, s1, s23
	s_add_i32 s25, s25, s26
	s_mul_hi_u32 s27, s23, s28
	s_mul_i32 s30, s23, s25
	s_mul_hi_u32 s29, s15, s28
	s_mul_i32 s26, s15, s28
	s_mul_hi_u32 s28, s23, s25
	s_add_u32 s27, s27, s30
	s_addc_u32 s28, 0, s28
	s_mul_hi_u32 s31, s15, s25
	s_add_u32 s26, s27, s26
	s_mul_i32 s25, s15, s25
	s_addc_u32 s26, s28, s29
	s_addc_u32 s27, s31, 0
	s_add_u32 s25, s26, s25
	s_addc_u32 s26, 0, s27
	s_add_u32 s23, s23, s25
	s_cselect_b32 s25, -1, 0
	s_mul_hi_u32 s27, s1, s23
	s_cmp_lg_u32 s25, 0
	s_mul_i32 s25, s1, s23
	s_addc_u32 s15, s15, s26
	s_mul_i32 s24, s24, s23
	s_mul_i32 s1, s1, s15
	s_mul_hi_u32 s26, s23, s25
	s_add_i32 s1, s27, s1
	s_mul_hi_u32 s27, s15, s25
	s_add_i32 s1, s1, s24
	s_mul_i32 s24, s15, s25
	s_mul_i32 s29, s23, s1
	s_mul_hi_u32 s28, s23, s1
	s_add_u32 s26, s26, s29
	s_addc_u32 s28, 0, s28
	s_mul_hi_u32 s25, s15, s1
	s_add_u32 s24, s26, s24
	s_mul_i32 s1, s15, s1
	s_addc_u32 s24, s28, s27
	s_addc_u32 s25, s25, 0
	s_add_u32 s1, s24, s1
	s_addc_u32 s24, 0, s25
	s_add_u32 s1, s23, s1
	s_cselect_b32 s23, -1, 0
	v_xor_b32_e32 v1, v1, v26
	s_cmp_lg_u32 s23, 0
	v_mul_hi_u32 v28, v27, s1
	s_addc_u32 s15, s15, s24
	v_mad_u64_u32 v[8:9], null, v27, s15, 0
	v_mad_u64_u32 v[22:23], null, v1, s1, 0
	;; [unrolled: 1-line block ×3, first 2 shown]
	v_add_co_u32 v8, vcc_lo, v28, v8
	v_add_co_ci_u32_e64 v9, null, 0, v9, vcc_lo
	v_add_co_u32 v8, vcc_lo, v8, v22
	v_add_co_ci_u32_e32 v8, vcc_lo, v9, v23, vcc_lo
	v_add_co_ci_u32_e32 v9, vcc_lo, 0, v25, vcc_lo
	v_add_co_u32 v22, vcc_lo, v8, v24
	v_add_co_ci_u32_e64 v23, null, 0, v9, vcc_lo
	v_mul_lo_u32 v24, s17, v22
	v_mad_u64_u32 v[8:9], null, s16, v22, 0
	v_mul_lo_u32 v25, s16, v23
	v_sub_co_u32 v8, vcc_lo, v27, v8
	v_add3_u32 v9, v9, v25, v24
	v_add_co_u32 v25, s1, v22, 2
	v_add_co_ci_u32_e64 v27, null, 0, v23, s1
	v_sub_nc_u32_e32 v24, v1, v9
	v_sub_co_u32 v28, s1, v8, s16
	v_sub_co_ci_u32_e64 v1, null, v1, v9, vcc_lo
	v_subrev_co_ci_u32_e64 v24, null, s17, v24, vcc_lo
	v_cmp_le_u32_e32 vcc_lo, s16, v28
	v_subrev_co_ci_u32_e64 v24, null, 0, v24, s1
	v_cndmask_b32_e64 v9, 0, -1, vcc_lo
	v_cmp_le_u32_e32 vcc_lo, s17, v24
	v_cndmask_b32_e64 v28, 0, -1, vcc_lo
	v_cmp_le_u32_e32 vcc_lo, s16, v8
	v_cndmask_b32_e64 v8, 0, -1, vcc_lo
	v_cmp_le_u32_e32 vcc_lo, s17, v1
	v_cndmask_b32_e64 v29, 0, -1, vcc_lo
	v_cmp_eq_u32_e32 vcc_lo, s17, v24
	v_cndmask_b32_e32 v9, v28, v9, vcc_lo
	v_add_co_u32 v24, vcc_lo, v22, 1
	v_add_co_ci_u32_e64 v28, null, 0, v23, vcc_lo
	v_cmp_eq_u32_e32 vcc_lo, s17, v1
	v_cndmask_b32_e32 v1, v29, v8, vcc_lo
	v_cmp_ne_u32_e32 vcc_lo, 0, v9
	v_xor_b32_e32 v9, s14, v26
	v_cmp_ne_u32_e64 s1, 0, v1
	v_cndmask_b32_e32 v1, v24, v25, vcc_lo
	v_cndmask_b32_e32 v8, v28, v27, vcc_lo
	v_cndmask_b32_e64 v1, v22, v1, s1
	v_cndmask_b32_e64 v8, v23, v8, s1
	v_xor_b32_e32 v1, v1, v9
	v_xor_b32_e32 v22, v8, v9
	v_sub_co_u32 v8, vcc_lo, v1, v9
	v_sub_co_ci_u32_e64 v9, null, v22, v9, vcc_lo
                                        ; implicit-def: $vgpr22
.LBB24_12:                              ;   in Loop: Header=BB24_10 Depth=2
	s_andn2_saveexec_b32 s1, s22
	s_cbranch_execz .LBB24_14
; %bb.13:                               ;   in Loop: Header=BB24_10 Depth=2
	v_cvt_f32_u32_e32 v1, s2
	v_rcp_iflag_f32_e32 v1, v1
	v_mul_f32_e32 v1, 0x4f7ffffe, v1
	v_cvt_u32_f32_e32 v1, v1
	v_mul_lo_u32 v8, s19, v1
	v_mul_hi_u32 v8, v1, v8
	v_add_nc_u32_e32 v1, v1, v8
	v_mul_hi_u32 v1, v22, v1
	v_mul_lo_u32 v8, v1, s2
	v_add_nc_u32_e32 v9, 1, v1
	v_sub_nc_u32_e32 v8, v22, v8
	v_subrev_nc_u32_e32 v22, s2, v8
	v_cmp_le_u32_e32 vcc_lo, s2, v8
	v_cndmask_b32_e32 v8, v8, v22, vcc_lo
	v_cndmask_b32_e32 v1, v1, v9, vcc_lo
	v_cmp_le_u32_e32 vcc_lo, s2, v8
	v_add_nc_u32_e32 v9, 1, v1
	v_cndmask_b32_e32 v8, v1, v9, vcc_lo
	v_mov_b32_e32 v9, v0
.LBB24_14:                              ;   in Loop: Header=BB24_10 Depth=2
	s_or_b32 exec_lo, exec_lo, s1
	s_mov_b32 s15, exec_lo
	v_cmp_eq_u64_e32 vcc_lo, v[8:9], v[5:6]
	v_cmpx_ne_u64_e64 v[8:9], v[5:6]
	s_xor_b32 s15, exec_lo, s15
; %bb.15:                               ;   in Loop: Header=BB24_10 Depth=2
	v_cmp_lt_i64_e64 s1, v[8:9], v[3:4]
                                        ; implicit-def: $vgpr21
	v_cndmask_b32_e64 v4, v4, v9, s1
	v_cndmask_b32_e64 v3, v3, v8, s1
; %bb.16:                               ;   in Loop: Header=BB24_10 Depth=2
	s_or_saveexec_b32 s1, s15
	v_mov_b32_e32 v1, v7
	s_xor_b32 exec_lo, exec_lo, s1
	s_cbranch_execz .LBB24_9
; %bb.17:                               ;   in Loop: Header=BB24_10 Depth=2
	v_mov_b32_e32 v1, v21
	ds_write_b8 v10, v20 offset:128
	s_branch .LBB24_9
.LBB24_18:                              ;   in Loop: Header=BB24_7 Depth=1
	s_or_b32 exec_lo, exec_lo, s21
.LBB24_19:                              ;   in Loop: Header=BB24_7 Depth=1
	s_or_b32 exec_lo, exec_lo, s20
	ds_bpermute_b32 v5, v14, v1
	s_waitcnt lgkmcnt(0)
	buffer_gl0_inv
	ds_read_u8 v6, v10 offset:128
	v_min_i32_e32 v1, v5, v1
	ds_bpermute_b32 v5, v15, v1
	s_waitcnt lgkmcnt(0)
	v_min_i32_e32 v1, v5, v1
	v_and_b32_e32 v5, 1, v6
	ds_bpermute_b32 v1, v16, v1
	v_cmp_eq_u32_e32 vcc_lo, 1, v5
	s_and_b32 s15, s0, vcc_lo
	s_and_saveexec_b32 s1, s15
	s_cbranch_execz .LBB24_6
; %bb.20:                               ;   in Loop: Header=BB24_7 Depth=1
	ds_read_b64 v[5:6], v11
	s_waitcnt lgkmcnt(0)
	v_add_co_u32 v5, vcc_lo, v5, 1
	v_add_co_ci_u32_e64 v6, null, 0, v6, vcc_lo
	ds_write_b64 v11, v[5:6]
	s_branch .LBB24_6
.LBB24_21:
	s_or_b32 exec_lo, exec_lo, s18
.LBB24_22:
	s_mov_b32 s0, exec_lo
	v_cmpx_eq_u32_e32 0, v12
	s_cbranch_execz .LBB24_25
; %bb.23:
	s_clause 0x1
	s_load_dword s2, s[4:5], 0x40
	s_load_dwordx2 s[0:1], s[4:5], 0x48
	v_mov_b32_e32 v1, 0
	v_lshl_or_b32 v0, s6, 4, v10
	v_cmp_gt_i64_e32 vcc_lo, s[8:9], v[0:1]
	s_waitcnt lgkmcnt(0)
	v_mov_b32_e32 v2, s2
	global_store_dword v1, v2, s[0:1]
	s_and_b32 exec_lo, exec_lo, vcc_lo
	s_cbranch_execz .LBB24_25
; %bb.24:
	ds_read_b32 v2, v11
	v_add_nc_u32_e32 v0, 1, v0
	v_lshlrev_b64 v[0:1], 2, v[0:1]
	v_add_co_u32 v0, vcc_lo, s0, v0
	v_add_co_ci_u32_e64 v1, null, s1, v1, vcc_lo
	s_waitcnt lgkmcnt(0)
	global_store_dword v[0:1], v2, off
.LBB24_25:
	s_endpgm
	.section	.rodata,"a",@progbits
	.p2align	6, 0x0
	.amdhsa_kernel _ZN9rocsparseL46csr2bsr_nnz_wavefront_per_row_multipass_kernelILj256ELj16ELj4EilEEvT3_S1_S1_S1_S1_21rocsparse_index_base_PKT2_PKS1_S2_PS3_
		.amdhsa_group_segment_fixed_size 144
		.amdhsa_private_segment_fixed_size 0
		.amdhsa_kernarg_size 80
		.amdhsa_user_sgpr_count 6
		.amdhsa_user_sgpr_private_segment_buffer 1
		.amdhsa_user_sgpr_dispatch_ptr 0
		.amdhsa_user_sgpr_queue_ptr 0
		.amdhsa_user_sgpr_kernarg_segment_ptr 1
		.amdhsa_user_sgpr_dispatch_id 0
		.amdhsa_user_sgpr_flat_scratch_init 0
		.amdhsa_user_sgpr_private_segment_size 0
		.amdhsa_wavefront_size32 1
		.amdhsa_uses_dynamic_stack 0
		.amdhsa_system_sgpr_private_segment_wavefront_offset 0
		.amdhsa_system_sgpr_workgroup_id_x 1
		.amdhsa_system_sgpr_workgroup_id_y 0
		.amdhsa_system_sgpr_workgroup_id_z 0
		.amdhsa_system_sgpr_workgroup_info 0
		.amdhsa_system_vgpr_workitem_id 0
		.amdhsa_next_free_vgpr 30
		.amdhsa_next_free_sgpr 32
		.amdhsa_reserve_vcc 1
		.amdhsa_reserve_flat_scratch 0
		.amdhsa_float_round_mode_32 0
		.amdhsa_float_round_mode_16_64 0
		.amdhsa_float_denorm_mode_32 3
		.amdhsa_float_denorm_mode_16_64 3
		.amdhsa_dx10_clamp 1
		.amdhsa_ieee_mode 1
		.amdhsa_fp16_overflow 0
		.amdhsa_workgroup_processor_mode 1
		.amdhsa_memory_ordered 1
		.amdhsa_forward_progress 1
		.amdhsa_shared_vgpr_count 0
		.amdhsa_exception_fp_ieee_invalid_op 0
		.amdhsa_exception_fp_denorm_src 0
		.amdhsa_exception_fp_ieee_div_zero 0
		.amdhsa_exception_fp_ieee_overflow 0
		.amdhsa_exception_fp_ieee_underflow 0
		.amdhsa_exception_fp_ieee_inexact 0
		.amdhsa_exception_int_div_zero 0
	.end_amdhsa_kernel
	.section	.text._ZN9rocsparseL46csr2bsr_nnz_wavefront_per_row_multipass_kernelILj256ELj16ELj4EilEEvT3_S1_S1_S1_S1_21rocsparse_index_base_PKT2_PKS1_S2_PS3_,"axG",@progbits,_ZN9rocsparseL46csr2bsr_nnz_wavefront_per_row_multipass_kernelILj256ELj16ELj4EilEEvT3_S1_S1_S1_S1_21rocsparse_index_base_PKT2_PKS1_S2_PS3_,comdat
.Lfunc_end24:
	.size	_ZN9rocsparseL46csr2bsr_nnz_wavefront_per_row_multipass_kernelILj256ELj16ELj4EilEEvT3_S1_S1_S1_S1_21rocsparse_index_base_PKT2_PKS1_S2_PS3_, .Lfunc_end24-_ZN9rocsparseL46csr2bsr_nnz_wavefront_per_row_multipass_kernelILj256ELj16ELj4EilEEvT3_S1_S1_S1_S1_21rocsparse_index_base_PKT2_PKS1_S2_PS3_
                                        ; -- End function
	.set _ZN9rocsparseL46csr2bsr_nnz_wavefront_per_row_multipass_kernelILj256ELj16ELj4EilEEvT3_S1_S1_S1_S1_21rocsparse_index_base_PKT2_PKS1_S2_PS3_.num_vgpr, 30
	.set _ZN9rocsparseL46csr2bsr_nnz_wavefront_per_row_multipass_kernelILj256ELj16ELj4EilEEvT3_S1_S1_S1_S1_21rocsparse_index_base_PKT2_PKS1_S2_PS3_.num_agpr, 0
	.set _ZN9rocsparseL46csr2bsr_nnz_wavefront_per_row_multipass_kernelILj256ELj16ELj4EilEEvT3_S1_S1_S1_S1_21rocsparse_index_base_PKT2_PKS1_S2_PS3_.numbered_sgpr, 32
	.set _ZN9rocsparseL46csr2bsr_nnz_wavefront_per_row_multipass_kernelILj256ELj16ELj4EilEEvT3_S1_S1_S1_S1_21rocsparse_index_base_PKT2_PKS1_S2_PS3_.num_named_barrier, 0
	.set _ZN9rocsparseL46csr2bsr_nnz_wavefront_per_row_multipass_kernelILj256ELj16ELj4EilEEvT3_S1_S1_S1_S1_21rocsparse_index_base_PKT2_PKS1_S2_PS3_.private_seg_size, 0
	.set _ZN9rocsparseL46csr2bsr_nnz_wavefront_per_row_multipass_kernelILj256ELj16ELj4EilEEvT3_S1_S1_S1_S1_21rocsparse_index_base_PKT2_PKS1_S2_PS3_.uses_vcc, 1
	.set _ZN9rocsparseL46csr2bsr_nnz_wavefront_per_row_multipass_kernelILj256ELj16ELj4EilEEvT3_S1_S1_S1_S1_21rocsparse_index_base_PKT2_PKS1_S2_PS3_.uses_flat_scratch, 0
	.set _ZN9rocsparseL46csr2bsr_nnz_wavefront_per_row_multipass_kernelILj256ELj16ELj4EilEEvT3_S1_S1_S1_S1_21rocsparse_index_base_PKT2_PKS1_S2_PS3_.has_dyn_sized_stack, 0
	.set _ZN9rocsparseL46csr2bsr_nnz_wavefront_per_row_multipass_kernelILj256ELj16ELj4EilEEvT3_S1_S1_S1_S1_21rocsparse_index_base_PKT2_PKS1_S2_PS3_.has_recursion, 0
	.set _ZN9rocsparseL46csr2bsr_nnz_wavefront_per_row_multipass_kernelILj256ELj16ELj4EilEEvT3_S1_S1_S1_S1_21rocsparse_index_base_PKT2_PKS1_S2_PS3_.has_indirect_call, 0
	.section	.AMDGPU.csdata,"",@progbits
; Kernel info:
; codeLenInByte = 1844
; TotalNumSgprs: 34
; NumVgprs: 30
; ScratchSize: 0
; MemoryBound: 0
; FloatMode: 240
; IeeeMode: 1
; LDSByteSize: 144 bytes/workgroup (compile time only)
; SGPRBlocks: 0
; VGPRBlocks: 3
; NumSGPRsForWavesPerEU: 34
; NumVGPRsForWavesPerEU: 30
; Occupancy: 16
; WaveLimiterHint : 0
; COMPUTE_PGM_RSRC2:SCRATCH_EN: 0
; COMPUTE_PGM_RSRC2:USER_SGPR: 6
; COMPUTE_PGM_RSRC2:TRAP_HANDLER: 0
; COMPUTE_PGM_RSRC2:TGID_X_EN: 1
; COMPUTE_PGM_RSRC2:TGID_Y_EN: 0
; COMPUTE_PGM_RSRC2:TGID_Z_EN: 0
; COMPUTE_PGM_RSRC2:TIDIG_COMP_CNT: 0
	.section	.text._ZN9rocsparseL46csr2bsr_nnz_wavefront_per_row_multipass_kernelILj256ELj64ELj8EilEEvT3_S1_S1_S1_S1_21rocsparse_index_base_PKT2_PKS1_S2_PS3_,"axG",@progbits,_ZN9rocsparseL46csr2bsr_nnz_wavefront_per_row_multipass_kernelILj256ELj64ELj8EilEEvT3_S1_S1_S1_S1_21rocsparse_index_base_PKT2_PKS1_S2_PS3_,comdat
	.globl	_ZN9rocsparseL46csr2bsr_nnz_wavefront_per_row_multipass_kernelILj256ELj64ELj8EilEEvT3_S1_S1_S1_S1_21rocsparse_index_base_PKT2_PKS1_S2_PS3_ ; -- Begin function _ZN9rocsparseL46csr2bsr_nnz_wavefront_per_row_multipass_kernelILj256ELj64ELj8EilEEvT3_S1_S1_S1_S1_21rocsparse_index_base_PKT2_PKS1_S2_PS3_
	.p2align	8
	.type	_ZN9rocsparseL46csr2bsr_nnz_wavefront_per_row_multipass_kernelILj256ELj64ELj8EilEEvT3_S1_S1_S1_S1_21rocsparse_index_base_PKT2_PKS1_S2_PS3_,@function
_ZN9rocsparseL46csr2bsr_nnz_wavefront_per_row_multipass_kernelILj256ELj64ELj8EilEEvT3_S1_S1_S1_S1_21rocsparse_index_base_PKT2_PKS1_S2_PS3_: ; @_ZN9rocsparseL46csr2bsr_nnz_wavefront_per_row_multipass_kernelILj256ELj64ELj8EilEEvT3_S1_S1_S1_S1_21rocsparse_index_base_PKT2_PKS1_S2_PS3_
; %bb.0:
	s_load_dwordx2 s[2:3], s[4:5], 0x20
	v_lshrrev_b32_e32 v10, 6, v0
	s_ashr_i32 s7, s6, 31
	s_clause 0x1
	s_load_dwordx2 s[14:15], s[4:5], 0x0
	s_load_dwordx4 s[8:11], s[4:5], 0x10
	s_lshl_b64 s[0:1], s[6:7], 2
	v_mov_b32_e32 v2, 0
	v_or_b32_e32 v3, s0, v10
	v_bfe_u32 v1, v0, 3, 3
	s_clause 0x1
	s_load_dword s7, s[4:5], 0x28
	s_load_dwordx2 s[12:13], s[4:5], 0x30
	v_lshlrev_b32_e32 v11, 3, v10
	v_mov_b32_e32 v6, v2
	s_waitcnt lgkmcnt(0)
	v_mul_lo_u32 v5, v3, s3
	v_mad_u64_u32 v[3:4], null, v3, s2, v[1:2]
	s_mul_i32 s0, s1, s2
	v_add3_u32 v4, s0, v4, v5
	v_cmp_gt_i64_e64 s0, s[2:3], v[1:2]
	v_mov_b32_e32 v5, v2
	v_mov_b32_e32 v1, 0
	v_cmp_gt_i64_e32 vcc_lo, s[14:15], v[3:4]
	ds_write_b64 v11, v[5:6]
	s_waitcnt lgkmcnt(0)
	s_barrier
	buffer_gl0_inv
	s_and_b32 s0, s0, vcc_lo
	s_and_saveexec_b32 s1, s0
	s_cbranch_execz .LBB25_2
; %bb.1:
	v_lshlrev_b64 v[5:6], 2, v[3:4]
	v_add_co_u32 v5, vcc_lo, s12, v5
	v_add_co_ci_u32_e64 v6, null, s13, v6, vcc_lo
	global_load_dword v1, v[5:6], off
	s_waitcnt vmcnt(0)
	v_subrev_nc_u32_e32 v1, s7, v1
.LBB25_2:
	s_or_b32 exec_lo, exec_lo, s1
	s_and_saveexec_b32 s1, s0
	s_cbranch_execz .LBB25_4
; %bb.3:
	v_lshlrev_b64 v[2:3], 2, v[3:4]
	v_add_co_u32 v2, vcc_lo, s12, v2
	v_add_co_ci_u32_e64 v3, null, s13, v3, vcc_lo
	global_load_dword v2, v[2:3], off offset:4
	s_waitcnt vmcnt(0)
	v_subrev_nc_u32_e32 v2, s7, v2
.LBB25_4:
	s_or_b32 exec_lo, exec_lo, s1
	v_cmp_lt_i64_e64 s0, s[10:11], 1
	v_and_b32_e32 v12, 63, v0
	s_and_b32 vcc_lo, exec_lo, s0
	v_cmp_eq_u32_e64 s0, 0, v12
	s_cbranch_vccnz .LBB25_22
; %bb.5:
	v_mbcnt_lo_u32_b32 v3, -1, 0
	v_and_b32_e32 v13, 7, v0
	s_load_dwordx2 s[12:13], s[4:5], 0x38
	v_bfrev_b32_e32 v21, 0.5
	v_mov_b32_e32 v22, 1
	v_xor_b32_e32 v4, 4, v3
	v_xor_b32_e32 v0, 2, v3
	;; [unrolled: 1-line block ×3, first 2 shown]
	v_or_b32_e32 v6, 32, v3
	v_xor_b32_e32 v7, 16, v3
	v_cmp_gt_i32_e32 vcc_lo, 32, v4
	v_lshl_or_b32 v17, v3, 2, 28
	s_mov_b32 s18, 0
	s_ashr_i32 s14, s3, 31
	s_sub_i32 s19, 0, s2
	v_cndmask_b32_e32 v4, v3, v4, vcc_lo
	v_cmp_gt_i32_e32 vcc_lo, 32, v0
	v_lshlrev_b32_e32 v14, 2, v4
	v_cndmask_b32_e32 v0, v3, v0, vcc_lo
	v_cmp_gt_i32_e32 vcc_lo, 32, v5
	v_lshlrev_b32_e32 v15, 2, v0
	v_cndmask_b32_e32 v5, v3, v5, vcc_lo
	v_cmp_gt_i32_e32 vcc_lo, 32, v6
	v_xor_b32_e32 v0, 8, v3
	v_lshlrev_b32_e32 v16, 2, v5
	v_cndmask_b32_e32 v4, v3, v6, vcc_lo
	v_cmp_gt_i32_e32 vcc_lo, 32, v7
	v_lshlrev_b32_e32 v18, 2, v4
	v_cndmask_b32_e32 v6, v3, v7, vcc_lo
	v_cmp_gt_i32_e32 vcc_lo, 32, v0
	v_lshlrev_b32_e32 v19, 2, v6
	v_cndmask_b32_e32 v0, v3, v0, vcc_lo
	v_mov_b32_e32 v5, 0
	v_mov_b32_e32 v6, 0
	v_lshlrev_b32_e32 v20, 2, v0
	v_mov_b32_e32 v0, 0
	s_branch .LBB25_7
.LBB25_6:                               ;   in Loop: Header=BB25_7 Depth=1
	s_or_b32 exec_lo, exec_lo, s1
	ds_bpermute_b32 v5, v18, v3
	ds_bpermute_b32 v6, v18, v4
	s_waitcnt lgkmcnt(0)
	buffer_gl0_inv
	v_cmp_lt_i64_e32 vcc_lo, v[5:6], v[3:4]
	v_cndmask_b32_e32 v4, v4, v6, vcc_lo
	v_cndmask_b32_e32 v3, v3, v5, vcc_lo
	ds_bpermute_b32 v6, v19, v4
	ds_bpermute_b32 v5, v19, v3
	s_waitcnt lgkmcnt(0)
	v_cmp_lt_i64_e32 vcc_lo, v[5:6], v[3:4]
	v_cndmask_b32_e32 v4, v4, v6, vcc_lo
	v_cndmask_b32_e32 v3, v3, v5, vcc_lo
	ds_bpermute_b32 v6, v20, v4
	ds_bpermute_b32 v5, v20, v3
	s_waitcnt lgkmcnt(0)
	;; [unrolled: 6-line block ×5, first 2 shown]
	v_cmp_lt_i64_e32 vcc_lo, v[5:6], v[3:4]
	v_cndmask_b32_e32 v3, v3, v5, vcc_lo
	ds_bpermute_b32 v5, v21, v3
	s_waitcnt lgkmcnt(0)
	v_ashrrev_i32_e32 v6, 31, v5
	v_cmp_le_i64_e32 vcc_lo, s[10:11], v[5:6]
	s_or_b32 s18, vcc_lo, s18
	s_andn2_b32 exec_lo, exec_lo, s18
	s_cbranch_execz .LBB25_21
.LBB25_7:                               ; =>This Loop Header: Depth=1
                                        ;     Child Loop BB25_10 Depth 2
	v_mov_b32_e32 v3, s10
	v_add_nc_u32_e32 v7, v1, v13
	v_mov_b32_e32 v4, s11
	v_mov_b32_e32 v1, v2
	s_mov_b32 s20, exec_lo
	ds_write_b8 v10, v0 offset:32
	s_waitcnt lgkmcnt(0)
	buffer_gl0_inv
	v_cmpx_lt_i32_e64 v7, v2
	s_cbranch_execz .LBB25_19
; %bb.8:                                ;   in Loop: Header=BB25_7 Depth=1
	v_mov_b32_e32 v3, s10
	v_mov_b32_e32 v4, s11
	;; [unrolled: 1-line block ×3, first 2 shown]
	s_mov_b32 s21, 0
	s_branch .LBB25_10
.LBB25_9:                               ;   in Loop: Header=BB25_10 Depth=2
	s_or_b32 exec_lo, exec_lo, s1
	v_add_nc_u32_e32 v7, 8, v7
	s_xor_b32 s15, vcc_lo, -1
	v_mov_b32_e32 v23, v1
	v_cmp_ge_i32_e64 s1, v7, v2
	s_or_b32 s1, s15, s1
	s_and_b32 s1, exec_lo, s1
	s_or_b32 s21, s1, s21
	s_andn2_b32 exec_lo, exec_lo, s21
	s_cbranch_execz .LBB25_18
.LBB25_10:                              ;   Parent Loop BB25_7 Depth=1
                                        ; =>  This Inner Loop Header: Depth=2
	v_ashrrev_i32_e32 v8, 31, v7
	s_mov_b32 s1, exec_lo
	v_lshlrev_b64 v[8:9], 3, v[7:8]
	v_add_co_u32 v8, vcc_lo, s12, v8
	v_add_co_ci_u32_e64 v9, null, s13, v9, vcc_lo
	global_load_dwordx2 v[8:9], v[8:9], off
	s_waitcnt vmcnt(0)
	v_sub_co_u32 v24, vcc_lo, v8, s7
	v_subrev_co_ci_u32_e64 v25, null, 0, v9, vcc_lo
                                        ; implicit-def: $vgpr8_vgpr9
	v_or_b32_e32 v1, s3, v25
	v_cmpx_ne_u64_e32 0, v[0:1]
	s_xor_b32 s22, exec_lo, s1
	s_cbranch_execz .LBB25_12
; %bb.11:                               ;   in Loop: Header=BB25_10 Depth=2
	s_add_u32 s16, s2, s14
	s_mov_b32 s15, s14
	s_addc_u32 s17, s3, s14
	v_ashrrev_i32_e32 v28, 31, v25
	s_xor_b64 s[16:17], s[16:17], s[14:15]
	v_cvt_f32_u32_e32 v1, s16
	v_cvt_f32_u32_e32 v8, s17
	s_sub_u32 s1, 0, s16
	s_subb_u32 s24, 0, s17
	v_add_co_u32 v9, vcc_lo, v24, v28
	v_fmac_f32_e32 v1, 0x4f800000, v8
	v_xor_b32_e32 v29, v9, v28
	v_rcp_f32_e32 v1, v1
	v_mul_f32_e32 v1, 0x5f7ffffc, v1
	v_mul_f32_e32 v8, 0x2f800000, v1
	v_trunc_f32_e32 v8, v8
	v_fmac_f32_e32 v1, 0xcf800000, v8
	v_cvt_u32_f32_e32 v8, v8
	v_cvt_u32_f32_e32 v1, v1
	v_readfirstlane_b32 s15, v8
	v_readfirstlane_b32 s23, v1
	s_mul_i32 s25, s1, s15
	v_add_co_ci_u32_e64 v1, null, v25, v28, vcc_lo
	s_mul_hi_u32 s27, s1, s23
	s_mul_i32 s26, s24, s23
	s_add_i32 s25, s27, s25
	s_mul_i32 s28, s1, s23
	s_add_i32 s25, s25, s26
	s_mul_hi_u32 s27, s23, s28
	s_mul_i32 s30, s23, s25
	s_mul_hi_u32 s29, s15, s28
	s_mul_i32 s26, s15, s28
	s_mul_hi_u32 s28, s23, s25
	s_add_u32 s27, s27, s30
	s_addc_u32 s28, 0, s28
	s_mul_hi_u32 s31, s15, s25
	s_add_u32 s26, s27, s26
	s_mul_i32 s25, s15, s25
	s_addc_u32 s26, s28, s29
	s_addc_u32 s27, s31, 0
	s_add_u32 s25, s26, s25
	s_addc_u32 s26, 0, s27
	s_add_u32 s23, s23, s25
	s_cselect_b32 s25, -1, 0
	s_mul_hi_u32 s27, s1, s23
	s_cmp_lg_u32 s25, 0
	s_mul_i32 s25, s1, s23
	s_addc_u32 s15, s15, s26
	s_mul_i32 s24, s24, s23
	s_mul_i32 s1, s1, s15
	s_mul_hi_u32 s26, s23, s25
	s_add_i32 s1, s27, s1
	s_mul_hi_u32 s27, s15, s25
	s_add_i32 s1, s1, s24
	s_mul_i32 s24, s15, s25
	s_mul_i32 s29, s23, s1
	s_mul_hi_u32 s28, s23, s1
	s_add_u32 s26, s26, s29
	s_addc_u32 s28, 0, s28
	s_mul_hi_u32 s25, s15, s1
	s_add_u32 s24, s26, s24
	s_mul_i32 s1, s15, s1
	s_addc_u32 s24, s28, s27
	s_addc_u32 s25, s25, 0
	s_add_u32 s1, s24, s1
	s_addc_u32 s24, 0, s25
	s_add_u32 s1, s23, s1
	s_cselect_b32 s23, -1, 0
	v_xor_b32_e32 v1, v1, v28
	s_cmp_lg_u32 s23, 0
	v_mul_hi_u32 v30, v29, s1
	s_addc_u32 s15, s15, s24
	v_mad_u64_u32 v[8:9], null, v29, s15, 0
	v_mad_u64_u32 v[24:25], null, v1, s1, 0
	;; [unrolled: 1-line block ×3, first 2 shown]
	v_add_co_u32 v8, vcc_lo, v30, v8
	v_add_co_ci_u32_e64 v9, null, 0, v9, vcc_lo
	v_add_co_u32 v8, vcc_lo, v8, v24
	v_add_co_ci_u32_e32 v8, vcc_lo, v9, v25, vcc_lo
	v_add_co_ci_u32_e32 v9, vcc_lo, 0, v27, vcc_lo
	v_add_co_u32 v24, vcc_lo, v8, v26
	v_add_co_ci_u32_e64 v25, null, 0, v9, vcc_lo
	v_mul_lo_u32 v26, s17, v24
	v_mad_u64_u32 v[8:9], null, s16, v24, 0
	v_mul_lo_u32 v27, s16, v25
	v_sub_co_u32 v8, vcc_lo, v29, v8
	v_add3_u32 v9, v9, v27, v26
	v_add_co_u32 v27, s1, v24, 2
	v_add_co_ci_u32_e64 v29, null, 0, v25, s1
	v_sub_nc_u32_e32 v26, v1, v9
	v_sub_co_u32 v30, s1, v8, s16
	v_sub_co_ci_u32_e64 v1, null, v1, v9, vcc_lo
	v_subrev_co_ci_u32_e64 v26, null, s17, v26, vcc_lo
	v_cmp_le_u32_e32 vcc_lo, s16, v30
	v_subrev_co_ci_u32_e64 v26, null, 0, v26, s1
	v_cndmask_b32_e64 v9, 0, -1, vcc_lo
	v_cmp_le_u32_e32 vcc_lo, s17, v26
	v_cndmask_b32_e64 v30, 0, -1, vcc_lo
	v_cmp_le_u32_e32 vcc_lo, s16, v8
	;; [unrolled: 2-line block ×3, first 2 shown]
	v_cndmask_b32_e64 v31, 0, -1, vcc_lo
	v_cmp_eq_u32_e32 vcc_lo, s17, v26
	v_cndmask_b32_e32 v9, v30, v9, vcc_lo
	v_add_co_u32 v26, vcc_lo, v24, 1
	v_add_co_ci_u32_e64 v30, null, 0, v25, vcc_lo
	v_cmp_eq_u32_e32 vcc_lo, s17, v1
	v_cndmask_b32_e32 v1, v31, v8, vcc_lo
	v_cmp_ne_u32_e32 vcc_lo, 0, v9
	v_xor_b32_e32 v9, s14, v28
	v_cmp_ne_u32_e64 s1, 0, v1
	v_cndmask_b32_e32 v1, v26, v27, vcc_lo
	v_cndmask_b32_e32 v8, v30, v29, vcc_lo
	v_cndmask_b32_e64 v1, v24, v1, s1
	v_cndmask_b32_e64 v8, v25, v8, s1
	v_xor_b32_e32 v1, v1, v9
	v_xor_b32_e32 v24, v8, v9
	v_sub_co_u32 v8, vcc_lo, v1, v9
	v_sub_co_ci_u32_e64 v9, null, v24, v9, vcc_lo
                                        ; implicit-def: $vgpr24
.LBB25_12:                              ;   in Loop: Header=BB25_10 Depth=2
	s_andn2_saveexec_b32 s1, s22
	s_cbranch_execz .LBB25_14
; %bb.13:                               ;   in Loop: Header=BB25_10 Depth=2
	v_cvt_f32_u32_e32 v1, s2
	v_rcp_iflag_f32_e32 v1, v1
	v_mul_f32_e32 v1, 0x4f7ffffe, v1
	v_cvt_u32_f32_e32 v1, v1
	v_mul_lo_u32 v8, s19, v1
	v_mul_hi_u32 v8, v1, v8
	v_add_nc_u32_e32 v1, v1, v8
	v_mul_hi_u32 v1, v24, v1
	v_mul_lo_u32 v8, v1, s2
	v_add_nc_u32_e32 v9, 1, v1
	v_sub_nc_u32_e32 v8, v24, v8
	v_subrev_nc_u32_e32 v24, s2, v8
	v_cmp_le_u32_e32 vcc_lo, s2, v8
	v_cndmask_b32_e32 v8, v8, v24, vcc_lo
	v_cndmask_b32_e32 v1, v1, v9, vcc_lo
	v_cmp_le_u32_e32 vcc_lo, s2, v8
	v_add_nc_u32_e32 v9, 1, v1
	v_cndmask_b32_e32 v8, v1, v9, vcc_lo
	v_mov_b32_e32 v9, v0
.LBB25_14:                              ;   in Loop: Header=BB25_10 Depth=2
	s_or_b32 exec_lo, exec_lo, s1
	s_mov_b32 s15, exec_lo
	v_cmp_eq_u64_e32 vcc_lo, v[8:9], v[5:6]
	v_cmpx_ne_u64_e64 v[8:9], v[5:6]
	s_xor_b32 s15, exec_lo, s15
; %bb.15:                               ;   in Loop: Header=BB25_10 Depth=2
	v_cmp_lt_i64_e64 s1, v[8:9], v[3:4]
                                        ; implicit-def: $vgpr23
	v_cndmask_b32_e64 v4, v4, v9, s1
	v_cndmask_b32_e64 v3, v3, v8, s1
; %bb.16:                               ;   in Loop: Header=BB25_10 Depth=2
	s_or_saveexec_b32 s1, s15
	v_mov_b32_e32 v1, v7
	s_xor_b32 exec_lo, exec_lo, s1
	s_cbranch_execz .LBB25_9
; %bb.17:                               ;   in Loop: Header=BB25_10 Depth=2
	v_mov_b32_e32 v1, v23
	ds_write_b8 v10, v22 offset:32
	s_branch .LBB25_9
.LBB25_18:                              ;   in Loop: Header=BB25_7 Depth=1
	s_or_b32 exec_lo, exec_lo, s21
.LBB25_19:                              ;   in Loop: Header=BB25_7 Depth=1
	s_or_b32 exec_lo, exec_lo, s20
	ds_bpermute_b32 v5, v14, v1
	s_waitcnt lgkmcnt(0)
	buffer_gl0_inv
	ds_read_u8 v6, v10 offset:32
	v_min_i32_e32 v1, v5, v1
	ds_bpermute_b32 v5, v15, v1
	s_waitcnt lgkmcnt(0)
	v_min_i32_e32 v1, v5, v1
	ds_bpermute_b32 v5, v16, v1
	s_waitcnt lgkmcnt(0)
	v_min_i32_e32 v1, v5, v1
	v_and_b32_e32 v5, 1, v6
	ds_bpermute_b32 v1, v17, v1
	v_cmp_eq_u32_e32 vcc_lo, 1, v5
	s_and_b32 s15, s0, vcc_lo
	s_and_saveexec_b32 s1, s15
	s_cbranch_execz .LBB25_6
; %bb.20:                               ;   in Loop: Header=BB25_7 Depth=1
	ds_read_b64 v[5:6], v11
	s_waitcnt lgkmcnt(0)
	v_add_co_u32 v5, vcc_lo, v5, 1
	v_add_co_ci_u32_e64 v6, null, 0, v6, vcc_lo
	ds_write_b64 v11, v[5:6]
	s_branch .LBB25_6
.LBB25_21:
	s_or_b32 exec_lo, exec_lo, s18
.LBB25_22:
	s_mov_b32 s0, exec_lo
	v_cmpx_eq_u32_e32 0, v12
	s_cbranch_execz .LBB25_25
; %bb.23:
	s_clause 0x1
	s_load_dword s2, s[4:5], 0x40
	s_load_dwordx2 s[0:1], s[4:5], 0x48
	v_mov_b32_e32 v1, 0
	v_lshl_or_b32 v0, s6, 2, v10
	v_cmp_gt_i64_e32 vcc_lo, s[8:9], v[0:1]
	s_waitcnt lgkmcnt(0)
	v_mov_b32_e32 v2, s2
	global_store_dword v1, v2, s[0:1]
	s_and_b32 exec_lo, exec_lo, vcc_lo
	s_cbranch_execz .LBB25_25
; %bb.24:
	ds_read_b32 v2, v11
	v_add_nc_u32_e32 v0, 1, v0
	v_lshlrev_b64 v[0:1], 2, v[0:1]
	v_add_co_u32 v0, vcc_lo, s0, v0
	v_add_co_ci_u32_e64 v1, null, s1, v1, vcc_lo
	s_waitcnt lgkmcnt(0)
	global_store_dword v[0:1], v2, off
.LBB25_25:
	s_endpgm
	.section	.rodata,"a",@progbits
	.p2align	6, 0x0
	.amdhsa_kernel _ZN9rocsparseL46csr2bsr_nnz_wavefront_per_row_multipass_kernelILj256ELj64ELj8EilEEvT3_S1_S1_S1_S1_21rocsparse_index_base_PKT2_PKS1_S2_PS3_
		.amdhsa_group_segment_fixed_size 40
		.amdhsa_private_segment_fixed_size 0
		.amdhsa_kernarg_size 80
		.amdhsa_user_sgpr_count 6
		.amdhsa_user_sgpr_private_segment_buffer 1
		.amdhsa_user_sgpr_dispatch_ptr 0
		.amdhsa_user_sgpr_queue_ptr 0
		.amdhsa_user_sgpr_kernarg_segment_ptr 1
		.amdhsa_user_sgpr_dispatch_id 0
		.amdhsa_user_sgpr_flat_scratch_init 0
		.amdhsa_user_sgpr_private_segment_size 0
		.amdhsa_wavefront_size32 1
		.amdhsa_uses_dynamic_stack 0
		.amdhsa_system_sgpr_private_segment_wavefront_offset 0
		.amdhsa_system_sgpr_workgroup_id_x 1
		.amdhsa_system_sgpr_workgroup_id_y 0
		.amdhsa_system_sgpr_workgroup_id_z 0
		.amdhsa_system_sgpr_workgroup_info 0
		.amdhsa_system_vgpr_workitem_id 0
		.amdhsa_next_free_vgpr 32
		.amdhsa_next_free_sgpr 32
		.amdhsa_reserve_vcc 1
		.amdhsa_reserve_flat_scratch 0
		.amdhsa_float_round_mode_32 0
		.amdhsa_float_round_mode_16_64 0
		.amdhsa_float_denorm_mode_32 3
		.amdhsa_float_denorm_mode_16_64 3
		.amdhsa_dx10_clamp 1
		.amdhsa_ieee_mode 1
		.amdhsa_fp16_overflow 0
		.amdhsa_workgroup_processor_mode 1
		.amdhsa_memory_ordered 1
		.amdhsa_forward_progress 1
		.amdhsa_shared_vgpr_count 0
		.amdhsa_exception_fp_ieee_invalid_op 0
		.amdhsa_exception_fp_denorm_src 0
		.amdhsa_exception_fp_ieee_div_zero 0
		.amdhsa_exception_fp_ieee_overflow 0
		.amdhsa_exception_fp_ieee_underflow 0
		.amdhsa_exception_fp_ieee_inexact 0
		.amdhsa_exception_int_div_zero 0
	.end_amdhsa_kernel
	.section	.text._ZN9rocsparseL46csr2bsr_nnz_wavefront_per_row_multipass_kernelILj256ELj64ELj8EilEEvT3_S1_S1_S1_S1_21rocsparse_index_base_PKT2_PKS1_S2_PS3_,"axG",@progbits,_ZN9rocsparseL46csr2bsr_nnz_wavefront_per_row_multipass_kernelILj256ELj64ELj8EilEEvT3_S1_S1_S1_S1_21rocsparse_index_base_PKT2_PKS1_S2_PS3_,comdat
.Lfunc_end25:
	.size	_ZN9rocsparseL46csr2bsr_nnz_wavefront_per_row_multipass_kernelILj256ELj64ELj8EilEEvT3_S1_S1_S1_S1_21rocsparse_index_base_PKT2_PKS1_S2_PS3_, .Lfunc_end25-_ZN9rocsparseL46csr2bsr_nnz_wavefront_per_row_multipass_kernelILj256ELj64ELj8EilEEvT3_S1_S1_S1_S1_21rocsparse_index_base_PKT2_PKS1_S2_PS3_
                                        ; -- End function
	.set _ZN9rocsparseL46csr2bsr_nnz_wavefront_per_row_multipass_kernelILj256ELj64ELj8EilEEvT3_S1_S1_S1_S1_21rocsparse_index_base_PKT2_PKS1_S2_PS3_.num_vgpr, 32
	.set _ZN9rocsparseL46csr2bsr_nnz_wavefront_per_row_multipass_kernelILj256ELj64ELj8EilEEvT3_S1_S1_S1_S1_21rocsparse_index_base_PKT2_PKS1_S2_PS3_.num_agpr, 0
	.set _ZN9rocsparseL46csr2bsr_nnz_wavefront_per_row_multipass_kernelILj256ELj64ELj8EilEEvT3_S1_S1_S1_S1_21rocsparse_index_base_PKT2_PKS1_S2_PS3_.numbered_sgpr, 32
	.set _ZN9rocsparseL46csr2bsr_nnz_wavefront_per_row_multipass_kernelILj256ELj64ELj8EilEEvT3_S1_S1_S1_S1_21rocsparse_index_base_PKT2_PKS1_S2_PS3_.num_named_barrier, 0
	.set _ZN9rocsparseL46csr2bsr_nnz_wavefront_per_row_multipass_kernelILj256ELj64ELj8EilEEvT3_S1_S1_S1_S1_21rocsparse_index_base_PKT2_PKS1_S2_PS3_.private_seg_size, 0
	.set _ZN9rocsparseL46csr2bsr_nnz_wavefront_per_row_multipass_kernelILj256ELj64ELj8EilEEvT3_S1_S1_S1_S1_21rocsparse_index_base_PKT2_PKS1_S2_PS3_.uses_vcc, 1
	.set _ZN9rocsparseL46csr2bsr_nnz_wavefront_per_row_multipass_kernelILj256ELj64ELj8EilEEvT3_S1_S1_S1_S1_21rocsparse_index_base_PKT2_PKS1_S2_PS3_.uses_flat_scratch, 0
	.set _ZN9rocsparseL46csr2bsr_nnz_wavefront_per_row_multipass_kernelILj256ELj64ELj8EilEEvT3_S1_S1_S1_S1_21rocsparse_index_base_PKT2_PKS1_S2_PS3_.has_dyn_sized_stack, 0
	.set _ZN9rocsparseL46csr2bsr_nnz_wavefront_per_row_multipass_kernelILj256ELj64ELj8EilEEvT3_S1_S1_S1_S1_21rocsparse_index_base_PKT2_PKS1_S2_PS3_.has_recursion, 0
	.set _ZN9rocsparseL46csr2bsr_nnz_wavefront_per_row_multipass_kernelILj256ELj64ELj8EilEEvT3_S1_S1_S1_S1_21rocsparse_index_base_PKT2_PKS1_S2_PS3_.has_indirect_call, 0
	.section	.AMDGPU.csdata,"",@progbits
; Kernel info:
; codeLenInByte = 1956
; TotalNumSgprs: 34
; NumVgprs: 32
; ScratchSize: 0
; MemoryBound: 0
; FloatMode: 240
; IeeeMode: 1
; LDSByteSize: 40 bytes/workgroup (compile time only)
; SGPRBlocks: 0
; VGPRBlocks: 3
; NumSGPRsForWavesPerEU: 34
; NumVGPRsForWavesPerEU: 32
; Occupancy: 16
; WaveLimiterHint : 0
; COMPUTE_PGM_RSRC2:SCRATCH_EN: 0
; COMPUTE_PGM_RSRC2:USER_SGPR: 6
; COMPUTE_PGM_RSRC2:TRAP_HANDLER: 0
; COMPUTE_PGM_RSRC2:TGID_X_EN: 1
; COMPUTE_PGM_RSRC2:TGID_Y_EN: 0
; COMPUTE_PGM_RSRC2:TGID_Z_EN: 0
; COMPUTE_PGM_RSRC2:TIDIG_COMP_CNT: 0
	.section	.text._ZN9rocsparseL46csr2bsr_nnz_wavefront_per_row_multipass_kernelILj256ELj32ELj8EilEEvT3_S1_S1_S1_S1_21rocsparse_index_base_PKT2_PKS1_S2_PS3_,"axG",@progbits,_ZN9rocsparseL46csr2bsr_nnz_wavefront_per_row_multipass_kernelILj256ELj32ELj8EilEEvT3_S1_S1_S1_S1_21rocsparse_index_base_PKT2_PKS1_S2_PS3_,comdat
	.globl	_ZN9rocsparseL46csr2bsr_nnz_wavefront_per_row_multipass_kernelILj256ELj32ELj8EilEEvT3_S1_S1_S1_S1_21rocsparse_index_base_PKT2_PKS1_S2_PS3_ ; -- Begin function _ZN9rocsparseL46csr2bsr_nnz_wavefront_per_row_multipass_kernelILj256ELj32ELj8EilEEvT3_S1_S1_S1_S1_21rocsparse_index_base_PKT2_PKS1_S2_PS3_
	.p2align	8
	.type	_ZN9rocsparseL46csr2bsr_nnz_wavefront_per_row_multipass_kernelILj256ELj32ELj8EilEEvT3_S1_S1_S1_S1_21rocsparse_index_base_PKT2_PKS1_S2_PS3_,@function
_ZN9rocsparseL46csr2bsr_nnz_wavefront_per_row_multipass_kernelILj256ELj32ELj8EilEEvT3_S1_S1_S1_S1_21rocsparse_index_base_PKT2_PKS1_S2_PS3_: ; @_ZN9rocsparseL46csr2bsr_nnz_wavefront_per_row_multipass_kernelILj256ELj32ELj8EilEEvT3_S1_S1_S1_S1_21rocsparse_index_base_PKT2_PKS1_S2_PS3_
; %bb.0:
	s_load_dwordx2 s[2:3], s[4:5], 0x20
	v_lshrrev_b32_e32 v10, 5, v0
	s_ashr_i32 s7, s6, 31
	s_clause 0x1
	s_load_dwordx2 s[14:15], s[4:5], 0x0
	s_load_dwordx4 s[8:11], s[4:5], 0x10
	s_lshl_b64 s[0:1], s[6:7], 3
	v_mov_b32_e32 v2, 0
	v_or_b32_e32 v3, s0, v10
	v_bfe_u32 v1, v0, 2, 3
	s_clause 0x1
	s_load_dword s7, s[4:5], 0x28
	s_load_dwordx2 s[12:13], s[4:5], 0x30
	v_lshlrev_b32_e32 v11, 3, v10
	v_mov_b32_e32 v6, v2
	s_waitcnt lgkmcnt(0)
	v_mul_lo_u32 v5, v3, s3
	v_mad_u64_u32 v[3:4], null, v3, s2, v[1:2]
	s_mul_i32 s0, s1, s2
	v_add3_u32 v4, s0, v4, v5
	v_cmp_gt_i64_e64 s0, s[2:3], v[1:2]
	v_mov_b32_e32 v5, v2
	v_mov_b32_e32 v1, 0
	v_cmp_gt_i64_e32 vcc_lo, s[14:15], v[3:4]
	ds_write_b64 v11, v[5:6]
	s_waitcnt lgkmcnt(0)
	s_barrier
	buffer_gl0_inv
	s_and_b32 s0, s0, vcc_lo
	s_and_saveexec_b32 s1, s0
	s_cbranch_execz .LBB26_2
; %bb.1:
	v_lshlrev_b64 v[5:6], 2, v[3:4]
	v_add_co_u32 v5, vcc_lo, s12, v5
	v_add_co_ci_u32_e64 v6, null, s13, v6, vcc_lo
	global_load_dword v1, v[5:6], off
	s_waitcnt vmcnt(0)
	v_subrev_nc_u32_e32 v1, s7, v1
.LBB26_2:
	s_or_b32 exec_lo, exec_lo, s1
	s_and_saveexec_b32 s1, s0
	s_cbranch_execz .LBB26_4
; %bb.3:
	v_lshlrev_b64 v[2:3], 2, v[3:4]
	v_add_co_u32 v2, vcc_lo, s12, v2
	v_add_co_ci_u32_e64 v3, null, s13, v3, vcc_lo
	global_load_dword v2, v[2:3], off offset:4
	s_waitcnt vmcnt(0)
	v_subrev_nc_u32_e32 v2, s7, v2
.LBB26_4:
	s_or_b32 exec_lo, exec_lo, s1
	v_cmp_lt_i64_e64 s0, s[10:11], 1
	v_and_b32_e32 v12, 31, v0
	s_and_b32 vcc_lo, exec_lo, s0
	v_cmp_eq_u32_e64 s0, 0, v12
	s_cbranch_vccnz .LBB26_22
; %bb.5:
	v_mbcnt_lo_u32_b32 v3, -1, 0
	v_and_b32_e32 v13, 3, v0
	s_load_dwordx2 s[12:13], s[4:5], 0x38
	v_mov_b32_e32 v20, 0x7c
	v_mov_b32_e32 v21, 1
	v_xor_b32_e32 v0, 2, v3
	v_xor_b32_e32 v4, 1, v3
	;; [unrolled: 1-line block ×5, first 2 shown]
	v_cmp_gt_i32_e32 vcc_lo, 32, v0
	v_lshl_or_b32 v16, v3, 2, 12
	s_mov_b32 s18, 0
	s_ashr_i32 s14, s3, 31
	s_sub_i32 s19, 0, s2
	v_cndmask_b32_e32 v0, v3, v0, vcc_lo
	v_cmp_gt_i32_e32 vcc_lo, 32, v4
	v_lshlrev_b32_e32 v14, 2, v0
	v_cndmask_b32_e32 v4, v3, v4, vcc_lo
	v_cmp_gt_i32_e32 vcc_lo, 32, v5
	v_lshlrev_b32_e32 v15, 2, v4
	;; [unrolled: 3-line block ×4, first 2 shown]
	v_cndmask_b32_e32 v6, v3, v7, vcc_lo
	v_mov_b32_e32 v0, 0
	v_lshlrev_b32_e32 v19, 2, v6
	v_mov_b32_e32 v5, 0
	v_mov_b32_e32 v6, 0
	s_branch .LBB26_7
.LBB26_6:                               ;   in Loop: Header=BB26_7 Depth=1
	s_or_b32 exec_lo, exec_lo, s1
	ds_bpermute_b32 v5, v17, v3
	ds_bpermute_b32 v6, v17, v4
	s_waitcnt lgkmcnt(0)
	buffer_gl0_inv
	v_cmp_lt_i64_e32 vcc_lo, v[5:6], v[3:4]
	v_cndmask_b32_e32 v4, v4, v6, vcc_lo
	v_cndmask_b32_e32 v3, v3, v5, vcc_lo
	ds_bpermute_b32 v6, v18, v4
	ds_bpermute_b32 v5, v18, v3
	s_waitcnt lgkmcnt(0)
	v_cmp_lt_i64_e32 vcc_lo, v[5:6], v[3:4]
	v_cndmask_b32_e32 v4, v4, v6, vcc_lo
	v_cndmask_b32_e32 v3, v3, v5, vcc_lo
	ds_bpermute_b32 v6, v19, v4
	ds_bpermute_b32 v5, v19, v3
	s_waitcnt lgkmcnt(0)
	;; [unrolled: 6-line block ×4, first 2 shown]
	v_cmp_lt_i64_e32 vcc_lo, v[5:6], v[3:4]
	v_cndmask_b32_e32 v3, v3, v5, vcc_lo
	ds_bpermute_b32 v5, v20, v3
	s_waitcnt lgkmcnt(0)
	v_ashrrev_i32_e32 v6, 31, v5
	v_cmp_le_i64_e32 vcc_lo, s[10:11], v[5:6]
	s_or_b32 s18, vcc_lo, s18
	s_andn2_b32 exec_lo, exec_lo, s18
	s_cbranch_execz .LBB26_21
.LBB26_7:                               ; =>This Loop Header: Depth=1
                                        ;     Child Loop BB26_10 Depth 2
	v_mov_b32_e32 v3, s10
	v_add_nc_u32_e32 v7, v1, v13
	v_mov_b32_e32 v4, s11
	v_mov_b32_e32 v1, v2
	s_mov_b32 s20, exec_lo
	ds_write_b8 v10, v0 offset:64
	s_waitcnt lgkmcnt(0)
	buffer_gl0_inv
	v_cmpx_lt_i32_e64 v7, v2
	s_cbranch_execz .LBB26_19
; %bb.8:                                ;   in Loop: Header=BB26_7 Depth=1
	v_mov_b32_e32 v3, s10
	v_mov_b32_e32 v4, s11
	;; [unrolled: 1-line block ×3, first 2 shown]
	s_mov_b32 s21, 0
	s_branch .LBB26_10
.LBB26_9:                               ;   in Loop: Header=BB26_10 Depth=2
	s_or_b32 exec_lo, exec_lo, s1
	v_add_nc_u32_e32 v7, 4, v7
	s_xor_b32 s15, vcc_lo, -1
	v_mov_b32_e32 v22, v1
	v_cmp_ge_i32_e64 s1, v7, v2
	s_or_b32 s1, s15, s1
	s_and_b32 s1, exec_lo, s1
	s_or_b32 s21, s1, s21
	s_andn2_b32 exec_lo, exec_lo, s21
	s_cbranch_execz .LBB26_18
.LBB26_10:                              ;   Parent Loop BB26_7 Depth=1
                                        ; =>  This Inner Loop Header: Depth=2
	v_ashrrev_i32_e32 v8, 31, v7
	s_mov_b32 s1, exec_lo
	v_lshlrev_b64 v[8:9], 3, v[7:8]
	v_add_co_u32 v8, vcc_lo, s12, v8
	v_add_co_ci_u32_e64 v9, null, s13, v9, vcc_lo
	global_load_dwordx2 v[8:9], v[8:9], off
	s_waitcnt vmcnt(0)
	v_sub_co_u32 v23, vcc_lo, v8, s7
	v_subrev_co_ci_u32_e64 v24, null, 0, v9, vcc_lo
                                        ; implicit-def: $vgpr8_vgpr9
	v_or_b32_e32 v1, s3, v24
	v_cmpx_ne_u64_e32 0, v[0:1]
	s_xor_b32 s22, exec_lo, s1
	s_cbranch_execz .LBB26_12
; %bb.11:                               ;   in Loop: Header=BB26_10 Depth=2
	s_add_u32 s16, s2, s14
	s_mov_b32 s15, s14
	s_addc_u32 s17, s3, s14
	v_ashrrev_i32_e32 v27, 31, v24
	s_xor_b64 s[16:17], s[16:17], s[14:15]
	v_cvt_f32_u32_e32 v1, s16
	v_cvt_f32_u32_e32 v8, s17
	s_sub_u32 s1, 0, s16
	s_subb_u32 s24, 0, s17
	v_add_co_u32 v9, vcc_lo, v23, v27
	v_fmac_f32_e32 v1, 0x4f800000, v8
	v_xor_b32_e32 v28, v9, v27
	v_rcp_f32_e32 v1, v1
	v_mul_f32_e32 v1, 0x5f7ffffc, v1
	v_mul_f32_e32 v8, 0x2f800000, v1
	v_trunc_f32_e32 v8, v8
	v_fmac_f32_e32 v1, 0xcf800000, v8
	v_cvt_u32_f32_e32 v8, v8
	v_cvt_u32_f32_e32 v1, v1
	v_readfirstlane_b32 s15, v8
	v_readfirstlane_b32 s23, v1
	s_mul_i32 s25, s1, s15
	v_add_co_ci_u32_e64 v1, null, v24, v27, vcc_lo
	s_mul_hi_u32 s27, s1, s23
	s_mul_i32 s26, s24, s23
	s_add_i32 s25, s27, s25
	s_mul_i32 s28, s1, s23
	s_add_i32 s25, s25, s26
	s_mul_hi_u32 s27, s23, s28
	s_mul_i32 s30, s23, s25
	s_mul_hi_u32 s29, s15, s28
	s_mul_i32 s26, s15, s28
	s_mul_hi_u32 s28, s23, s25
	s_add_u32 s27, s27, s30
	s_addc_u32 s28, 0, s28
	s_mul_hi_u32 s31, s15, s25
	s_add_u32 s26, s27, s26
	s_mul_i32 s25, s15, s25
	s_addc_u32 s26, s28, s29
	s_addc_u32 s27, s31, 0
	s_add_u32 s25, s26, s25
	s_addc_u32 s26, 0, s27
	s_add_u32 s23, s23, s25
	s_cselect_b32 s25, -1, 0
	s_mul_hi_u32 s27, s1, s23
	s_cmp_lg_u32 s25, 0
	s_mul_i32 s25, s1, s23
	s_addc_u32 s15, s15, s26
	s_mul_i32 s24, s24, s23
	s_mul_i32 s1, s1, s15
	s_mul_hi_u32 s26, s23, s25
	s_add_i32 s1, s27, s1
	s_mul_hi_u32 s27, s15, s25
	s_add_i32 s1, s1, s24
	s_mul_i32 s24, s15, s25
	s_mul_i32 s29, s23, s1
	s_mul_hi_u32 s28, s23, s1
	s_add_u32 s26, s26, s29
	s_addc_u32 s28, 0, s28
	s_mul_hi_u32 s25, s15, s1
	s_add_u32 s24, s26, s24
	s_mul_i32 s1, s15, s1
	s_addc_u32 s24, s28, s27
	s_addc_u32 s25, s25, 0
	s_add_u32 s1, s24, s1
	s_addc_u32 s24, 0, s25
	s_add_u32 s1, s23, s1
	s_cselect_b32 s23, -1, 0
	v_xor_b32_e32 v1, v1, v27
	s_cmp_lg_u32 s23, 0
	v_mul_hi_u32 v29, v28, s1
	s_addc_u32 s15, s15, s24
	v_mad_u64_u32 v[8:9], null, v28, s15, 0
	v_mad_u64_u32 v[23:24], null, v1, s1, 0
	;; [unrolled: 1-line block ×3, first 2 shown]
	v_add_co_u32 v8, vcc_lo, v29, v8
	v_add_co_ci_u32_e64 v9, null, 0, v9, vcc_lo
	v_add_co_u32 v8, vcc_lo, v8, v23
	v_add_co_ci_u32_e32 v8, vcc_lo, v9, v24, vcc_lo
	v_add_co_ci_u32_e32 v9, vcc_lo, 0, v26, vcc_lo
	v_add_co_u32 v23, vcc_lo, v8, v25
	v_add_co_ci_u32_e64 v24, null, 0, v9, vcc_lo
	v_mul_lo_u32 v25, s17, v23
	v_mad_u64_u32 v[8:9], null, s16, v23, 0
	v_mul_lo_u32 v26, s16, v24
	v_sub_co_u32 v8, vcc_lo, v28, v8
	v_add3_u32 v9, v9, v26, v25
	v_add_co_u32 v26, s1, v23, 2
	v_add_co_ci_u32_e64 v28, null, 0, v24, s1
	v_sub_nc_u32_e32 v25, v1, v9
	v_sub_co_u32 v29, s1, v8, s16
	v_sub_co_ci_u32_e64 v1, null, v1, v9, vcc_lo
	v_subrev_co_ci_u32_e64 v25, null, s17, v25, vcc_lo
	v_cmp_le_u32_e32 vcc_lo, s16, v29
	v_subrev_co_ci_u32_e64 v25, null, 0, v25, s1
	v_cndmask_b32_e64 v9, 0, -1, vcc_lo
	v_cmp_le_u32_e32 vcc_lo, s17, v25
	v_cndmask_b32_e64 v29, 0, -1, vcc_lo
	v_cmp_le_u32_e32 vcc_lo, s16, v8
	;; [unrolled: 2-line block ×3, first 2 shown]
	v_cndmask_b32_e64 v30, 0, -1, vcc_lo
	v_cmp_eq_u32_e32 vcc_lo, s17, v25
	v_cndmask_b32_e32 v9, v29, v9, vcc_lo
	v_add_co_u32 v25, vcc_lo, v23, 1
	v_add_co_ci_u32_e64 v29, null, 0, v24, vcc_lo
	v_cmp_eq_u32_e32 vcc_lo, s17, v1
	v_cndmask_b32_e32 v1, v30, v8, vcc_lo
	v_cmp_ne_u32_e32 vcc_lo, 0, v9
	v_xor_b32_e32 v9, s14, v27
	v_cmp_ne_u32_e64 s1, 0, v1
	v_cndmask_b32_e32 v1, v25, v26, vcc_lo
	v_cndmask_b32_e32 v8, v29, v28, vcc_lo
	v_cndmask_b32_e64 v1, v23, v1, s1
	v_cndmask_b32_e64 v8, v24, v8, s1
	v_xor_b32_e32 v1, v1, v9
	v_xor_b32_e32 v23, v8, v9
	v_sub_co_u32 v8, vcc_lo, v1, v9
	v_sub_co_ci_u32_e64 v9, null, v23, v9, vcc_lo
                                        ; implicit-def: $vgpr23
.LBB26_12:                              ;   in Loop: Header=BB26_10 Depth=2
	s_andn2_saveexec_b32 s1, s22
	s_cbranch_execz .LBB26_14
; %bb.13:                               ;   in Loop: Header=BB26_10 Depth=2
	v_cvt_f32_u32_e32 v1, s2
	v_rcp_iflag_f32_e32 v1, v1
	v_mul_f32_e32 v1, 0x4f7ffffe, v1
	v_cvt_u32_f32_e32 v1, v1
	v_mul_lo_u32 v8, s19, v1
	v_mul_hi_u32 v8, v1, v8
	v_add_nc_u32_e32 v1, v1, v8
	v_mul_hi_u32 v1, v23, v1
	v_mul_lo_u32 v8, v1, s2
	v_add_nc_u32_e32 v9, 1, v1
	v_sub_nc_u32_e32 v8, v23, v8
	v_subrev_nc_u32_e32 v23, s2, v8
	v_cmp_le_u32_e32 vcc_lo, s2, v8
	v_cndmask_b32_e32 v8, v8, v23, vcc_lo
	v_cndmask_b32_e32 v1, v1, v9, vcc_lo
	v_cmp_le_u32_e32 vcc_lo, s2, v8
	v_add_nc_u32_e32 v9, 1, v1
	v_cndmask_b32_e32 v8, v1, v9, vcc_lo
	v_mov_b32_e32 v9, v0
.LBB26_14:                              ;   in Loop: Header=BB26_10 Depth=2
	s_or_b32 exec_lo, exec_lo, s1
	s_mov_b32 s15, exec_lo
	v_cmp_eq_u64_e32 vcc_lo, v[8:9], v[5:6]
	v_cmpx_ne_u64_e64 v[8:9], v[5:6]
	s_xor_b32 s15, exec_lo, s15
; %bb.15:                               ;   in Loop: Header=BB26_10 Depth=2
	v_cmp_lt_i64_e64 s1, v[8:9], v[3:4]
                                        ; implicit-def: $vgpr22
	v_cndmask_b32_e64 v4, v4, v9, s1
	v_cndmask_b32_e64 v3, v3, v8, s1
; %bb.16:                               ;   in Loop: Header=BB26_10 Depth=2
	s_or_saveexec_b32 s1, s15
	v_mov_b32_e32 v1, v7
	s_xor_b32 exec_lo, exec_lo, s1
	s_cbranch_execz .LBB26_9
; %bb.17:                               ;   in Loop: Header=BB26_10 Depth=2
	v_mov_b32_e32 v1, v22
	ds_write_b8 v10, v21 offset:64
	s_branch .LBB26_9
.LBB26_18:                              ;   in Loop: Header=BB26_7 Depth=1
	s_or_b32 exec_lo, exec_lo, s21
.LBB26_19:                              ;   in Loop: Header=BB26_7 Depth=1
	s_or_b32 exec_lo, exec_lo, s20
	ds_bpermute_b32 v5, v14, v1
	s_waitcnt lgkmcnt(0)
	buffer_gl0_inv
	ds_read_u8 v6, v10 offset:64
	v_min_i32_e32 v1, v5, v1
	ds_bpermute_b32 v5, v15, v1
	s_waitcnt lgkmcnt(0)
	v_min_i32_e32 v1, v5, v1
	v_and_b32_e32 v5, 1, v6
	ds_bpermute_b32 v1, v16, v1
	v_cmp_eq_u32_e32 vcc_lo, 1, v5
	s_and_b32 s15, s0, vcc_lo
	s_and_saveexec_b32 s1, s15
	s_cbranch_execz .LBB26_6
; %bb.20:                               ;   in Loop: Header=BB26_7 Depth=1
	ds_read_b64 v[5:6], v11
	s_waitcnt lgkmcnt(0)
	v_add_co_u32 v5, vcc_lo, v5, 1
	v_add_co_ci_u32_e64 v6, null, 0, v6, vcc_lo
	ds_write_b64 v11, v[5:6]
	s_branch .LBB26_6
.LBB26_21:
	s_or_b32 exec_lo, exec_lo, s18
.LBB26_22:
	s_mov_b32 s0, exec_lo
	v_cmpx_eq_u32_e32 0, v12
	s_cbranch_execz .LBB26_25
; %bb.23:
	s_clause 0x1
	s_load_dword s2, s[4:5], 0x40
	s_load_dwordx2 s[0:1], s[4:5], 0x48
	v_mov_b32_e32 v1, 0
	v_lshl_or_b32 v0, s6, 3, v10
	v_cmp_gt_i64_e32 vcc_lo, s[8:9], v[0:1]
	s_waitcnt lgkmcnt(0)
	v_mov_b32_e32 v2, s2
	global_store_dword v1, v2, s[0:1]
	s_and_b32 exec_lo, exec_lo, vcc_lo
	s_cbranch_execz .LBB26_25
; %bb.24:
	ds_read_b32 v2, v11
	v_add_nc_u32_e32 v0, 1, v0
	v_lshlrev_b64 v[0:1], 2, v[0:1]
	v_add_co_u32 v0, vcc_lo, s0, v0
	v_add_co_ci_u32_e64 v1, null, s1, v1, vcc_lo
	s_waitcnt lgkmcnt(0)
	global_store_dword v[0:1], v2, off
.LBB26_25:
	s_endpgm
	.section	.rodata,"a",@progbits
	.p2align	6, 0x0
	.amdhsa_kernel _ZN9rocsparseL46csr2bsr_nnz_wavefront_per_row_multipass_kernelILj256ELj32ELj8EilEEvT3_S1_S1_S1_S1_21rocsparse_index_base_PKT2_PKS1_S2_PS3_
		.amdhsa_group_segment_fixed_size 72
		.amdhsa_private_segment_fixed_size 0
		.amdhsa_kernarg_size 80
		.amdhsa_user_sgpr_count 6
		.amdhsa_user_sgpr_private_segment_buffer 1
		.amdhsa_user_sgpr_dispatch_ptr 0
		.amdhsa_user_sgpr_queue_ptr 0
		.amdhsa_user_sgpr_kernarg_segment_ptr 1
		.amdhsa_user_sgpr_dispatch_id 0
		.amdhsa_user_sgpr_flat_scratch_init 0
		.amdhsa_user_sgpr_private_segment_size 0
		.amdhsa_wavefront_size32 1
		.amdhsa_uses_dynamic_stack 0
		.amdhsa_system_sgpr_private_segment_wavefront_offset 0
		.amdhsa_system_sgpr_workgroup_id_x 1
		.amdhsa_system_sgpr_workgroup_id_y 0
		.amdhsa_system_sgpr_workgroup_id_z 0
		.amdhsa_system_sgpr_workgroup_info 0
		.amdhsa_system_vgpr_workitem_id 0
		.amdhsa_next_free_vgpr 31
		.amdhsa_next_free_sgpr 32
		.amdhsa_reserve_vcc 1
		.amdhsa_reserve_flat_scratch 0
		.amdhsa_float_round_mode_32 0
		.amdhsa_float_round_mode_16_64 0
		.amdhsa_float_denorm_mode_32 3
		.amdhsa_float_denorm_mode_16_64 3
		.amdhsa_dx10_clamp 1
		.amdhsa_ieee_mode 1
		.amdhsa_fp16_overflow 0
		.amdhsa_workgroup_processor_mode 1
		.amdhsa_memory_ordered 1
		.amdhsa_forward_progress 1
		.amdhsa_shared_vgpr_count 0
		.amdhsa_exception_fp_ieee_invalid_op 0
		.amdhsa_exception_fp_denorm_src 0
		.amdhsa_exception_fp_ieee_div_zero 0
		.amdhsa_exception_fp_ieee_overflow 0
		.amdhsa_exception_fp_ieee_underflow 0
		.amdhsa_exception_fp_ieee_inexact 0
		.amdhsa_exception_int_div_zero 0
	.end_amdhsa_kernel
	.section	.text._ZN9rocsparseL46csr2bsr_nnz_wavefront_per_row_multipass_kernelILj256ELj32ELj8EilEEvT3_S1_S1_S1_S1_21rocsparse_index_base_PKT2_PKS1_S2_PS3_,"axG",@progbits,_ZN9rocsparseL46csr2bsr_nnz_wavefront_per_row_multipass_kernelILj256ELj32ELj8EilEEvT3_S1_S1_S1_S1_21rocsparse_index_base_PKT2_PKS1_S2_PS3_,comdat
.Lfunc_end26:
	.size	_ZN9rocsparseL46csr2bsr_nnz_wavefront_per_row_multipass_kernelILj256ELj32ELj8EilEEvT3_S1_S1_S1_S1_21rocsparse_index_base_PKT2_PKS1_S2_PS3_, .Lfunc_end26-_ZN9rocsparseL46csr2bsr_nnz_wavefront_per_row_multipass_kernelILj256ELj32ELj8EilEEvT3_S1_S1_S1_S1_21rocsparse_index_base_PKT2_PKS1_S2_PS3_
                                        ; -- End function
	.set _ZN9rocsparseL46csr2bsr_nnz_wavefront_per_row_multipass_kernelILj256ELj32ELj8EilEEvT3_S1_S1_S1_S1_21rocsparse_index_base_PKT2_PKS1_S2_PS3_.num_vgpr, 31
	.set _ZN9rocsparseL46csr2bsr_nnz_wavefront_per_row_multipass_kernelILj256ELj32ELj8EilEEvT3_S1_S1_S1_S1_21rocsparse_index_base_PKT2_PKS1_S2_PS3_.num_agpr, 0
	.set _ZN9rocsparseL46csr2bsr_nnz_wavefront_per_row_multipass_kernelILj256ELj32ELj8EilEEvT3_S1_S1_S1_S1_21rocsparse_index_base_PKT2_PKS1_S2_PS3_.numbered_sgpr, 32
	.set _ZN9rocsparseL46csr2bsr_nnz_wavefront_per_row_multipass_kernelILj256ELj32ELj8EilEEvT3_S1_S1_S1_S1_21rocsparse_index_base_PKT2_PKS1_S2_PS3_.num_named_barrier, 0
	.set _ZN9rocsparseL46csr2bsr_nnz_wavefront_per_row_multipass_kernelILj256ELj32ELj8EilEEvT3_S1_S1_S1_S1_21rocsparse_index_base_PKT2_PKS1_S2_PS3_.private_seg_size, 0
	.set _ZN9rocsparseL46csr2bsr_nnz_wavefront_per_row_multipass_kernelILj256ELj32ELj8EilEEvT3_S1_S1_S1_S1_21rocsparse_index_base_PKT2_PKS1_S2_PS3_.uses_vcc, 1
	.set _ZN9rocsparseL46csr2bsr_nnz_wavefront_per_row_multipass_kernelILj256ELj32ELj8EilEEvT3_S1_S1_S1_S1_21rocsparse_index_base_PKT2_PKS1_S2_PS3_.uses_flat_scratch, 0
	.set _ZN9rocsparseL46csr2bsr_nnz_wavefront_per_row_multipass_kernelILj256ELj32ELj8EilEEvT3_S1_S1_S1_S1_21rocsparse_index_base_PKT2_PKS1_S2_PS3_.has_dyn_sized_stack, 0
	.set _ZN9rocsparseL46csr2bsr_nnz_wavefront_per_row_multipass_kernelILj256ELj32ELj8EilEEvT3_S1_S1_S1_S1_21rocsparse_index_base_PKT2_PKS1_S2_PS3_.has_recursion, 0
	.set _ZN9rocsparseL46csr2bsr_nnz_wavefront_per_row_multipass_kernelILj256ELj32ELj8EilEEvT3_S1_S1_S1_S1_21rocsparse_index_base_PKT2_PKS1_S2_PS3_.has_indirect_call, 0
	.section	.AMDGPU.csdata,"",@progbits
; Kernel info:
; codeLenInByte = 1896
; TotalNumSgprs: 34
; NumVgprs: 31
; ScratchSize: 0
; MemoryBound: 0
; FloatMode: 240
; IeeeMode: 1
; LDSByteSize: 72 bytes/workgroup (compile time only)
; SGPRBlocks: 0
; VGPRBlocks: 3
; NumSGPRsForWavesPerEU: 34
; NumVGPRsForWavesPerEU: 31
; Occupancy: 16
; WaveLimiterHint : 0
; COMPUTE_PGM_RSRC2:SCRATCH_EN: 0
; COMPUTE_PGM_RSRC2:USER_SGPR: 6
; COMPUTE_PGM_RSRC2:TRAP_HANDLER: 0
; COMPUTE_PGM_RSRC2:TGID_X_EN: 1
; COMPUTE_PGM_RSRC2:TGID_Y_EN: 0
; COMPUTE_PGM_RSRC2:TGID_Z_EN: 0
; COMPUTE_PGM_RSRC2:TIDIG_COMP_CNT: 0
	.section	.text._ZN9rocsparseL46csr2bsr_nnz_wavefront_per_row_multipass_kernelILj256ELj64ELj16EilEEvT3_S1_S1_S1_S1_21rocsparse_index_base_PKT2_PKS1_S2_PS3_,"axG",@progbits,_ZN9rocsparseL46csr2bsr_nnz_wavefront_per_row_multipass_kernelILj256ELj64ELj16EilEEvT3_S1_S1_S1_S1_21rocsparse_index_base_PKT2_PKS1_S2_PS3_,comdat
	.globl	_ZN9rocsparseL46csr2bsr_nnz_wavefront_per_row_multipass_kernelILj256ELj64ELj16EilEEvT3_S1_S1_S1_S1_21rocsparse_index_base_PKT2_PKS1_S2_PS3_ ; -- Begin function _ZN9rocsparseL46csr2bsr_nnz_wavefront_per_row_multipass_kernelILj256ELj64ELj16EilEEvT3_S1_S1_S1_S1_21rocsparse_index_base_PKT2_PKS1_S2_PS3_
	.p2align	8
	.type	_ZN9rocsparseL46csr2bsr_nnz_wavefront_per_row_multipass_kernelILj256ELj64ELj16EilEEvT3_S1_S1_S1_S1_21rocsparse_index_base_PKT2_PKS1_S2_PS3_,@function
_ZN9rocsparseL46csr2bsr_nnz_wavefront_per_row_multipass_kernelILj256ELj64ELj16EilEEvT3_S1_S1_S1_S1_21rocsparse_index_base_PKT2_PKS1_S2_PS3_: ; @_ZN9rocsparseL46csr2bsr_nnz_wavefront_per_row_multipass_kernelILj256ELj64ELj16EilEEvT3_S1_S1_S1_S1_21rocsparse_index_base_PKT2_PKS1_S2_PS3_
; %bb.0:
	s_load_dwordx2 s[2:3], s[4:5], 0x20
	v_lshrrev_b32_e32 v10, 6, v0
	s_ashr_i32 s7, s6, 31
	s_clause 0x1
	s_load_dwordx2 s[14:15], s[4:5], 0x0
	s_load_dwordx4 s[8:11], s[4:5], 0x10
	s_lshl_b64 s[0:1], s[6:7], 2
	v_mov_b32_e32 v2, 0
	v_or_b32_e32 v3, s0, v10
	v_bfe_u32 v1, v0, 2, 4
	s_clause 0x1
	s_load_dword s7, s[4:5], 0x28
	s_load_dwordx2 s[12:13], s[4:5], 0x30
	v_lshlrev_b32_e32 v11, 3, v10
	v_mov_b32_e32 v6, v2
	s_waitcnt lgkmcnt(0)
	v_mul_lo_u32 v5, v3, s3
	v_mad_u64_u32 v[3:4], null, v3, s2, v[1:2]
	s_mul_i32 s0, s1, s2
	v_add3_u32 v4, s0, v4, v5
	v_cmp_gt_i64_e64 s0, s[2:3], v[1:2]
	v_mov_b32_e32 v5, v2
	v_mov_b32_e32 v1, 0
	v_cmp_gt_i64_e32 vcc_lo, s[14:15], v[3:4]
	ds_write_b64 v11, v[5:6]
	s_waitcnt lgkmcnt(0)
	s_barrier
	buffer_gl0_inv
	s_and_b32 s0, s0, vcc_lo
	s_and_saveexec_b32 s1, s0
	s_cbranch_execz .LBB27_2
; %bb.1:
	v_lshlrev_b64 v[5:6], 2, v[3:4]
	v_add_co_u32 v5, vcc_lo, s12, v5
	v_add_co_ci_u32_e64 v6, null, s13, v6, vcc_lo
	global_load_dword v1, v[5:6], off
	s_waitcnt vmcnt(0)
	v_subrev_nc_u32_e32 v1, s7, v1
.LBB27_2:
	s_or_b32 exec_lo, exec_lo, s1
	s_and_saveexec_b32 s1, s0
	s_cbranch_execz .LBB27_4
; %bb.3:
	v_lshlrev_b64 v[2:3], 2, v[3:4]
	v_add_co_u32 v2, vcc_lo, s12, v2
	v_add_co_ci_u32_e64 v3, null, s13, v3, vcc_lo
	global_load_dword v2, v[2:3], off offset:4
	s_waitcnt vmcnt(0)
	v_subrev_nc_u32_e32 v2, s7, v2
.LBB27_4:
	s_or_b32 exec_lo, exec_lo, s1
	v_cmp_lt_i64_e64 s0, s[10:11], 1
	v_and_b32_e32 v12, 63, v0
	s_and_b32 vcc_lo, exec_lo, s0
	v_cmp_eq_u32_e64 s0, 0, v12
	s_cbranch_vccnz .LBB27_22
; %bb.5:
	v_mbcnt_lo_u32_b32 v3, -1, 0
	v_and_b32_e32 v13, 3, v0
	s_load_dwordx2 s[12:13], s[4:5], 0x38
	v_bfrev_b32_e32 v21, 0.5
	v_mov_b32_e32 v22, 1
	v_xor_b32_e32 v4, 2, v3
	v_xor_b32_e32 v0, 1, v3
	v_or_b32_e32 v5, 32, v3
	v_xor_b32_e32 v6, 16, v3
	v_xor_b32_e32 v7, 8, v3
	v_cmp_gt_i32_e32 vcc_lo, 32, v4
	v_lshl_or_b32 v16, v3, 2, 12
	s_mov_b32 s18, 0
	s_ashr_i32 s14, s3, 31
	s_sub_i32 s19, 0, s2
	v_cndmask_b32_e32 v4, v3, v4, vcc_lo
	v_cmp_gt_i32_e32 vcc_lo, 32, v0
	v_lshlrev_b32_e32 v14, 2, v4
	v_cndmask_b32_e32 v0, v3, v0, vcc_lo
	v_cmp_gt_i32_e32 vcc_lo, 32, v5
	v_lshlrev_b32_e32 v15, 2, v0
	v_cndmask_b32_e32 v5, v3, v5, vcc_lo
	v_cmp_gt_i32_e32 vcc_lo, 32, v6
	v_xor_b32_e32 v0, 4, v3
	v_lshlrev_b32_e32 v17, 2, v5
	v_cndmask_b32_e32 v4, v3, v6, vcc_lo
	v_cmp_gt_i32_e32 vcc_lo, 32, v7
	v_lshlrev_b32_e32 v18, 2, v4
	v_cndmask_b32_e32 v6, v3, v7, vcc_lo
	v_cmp_gt_i32_e32 vcc_lo, 32, v0
	v_lshlrev_b32_e32 v19, 2, v6
	v_cndmask_b32_e32 v0, v3, v0, vcc_lo
	v_mov_b32_e32 v5, 0
	v_mov_b32_e32 v6, 0
	v_lshlrev_b32_e32 v20, 2, v0
	v_mov_b32_e32 v0, 0
	s_branch .LBB27_7
.LBB27_6:                               ;   in Loop: Header=BB27_7 Depth=1
	s_or_b32 exec_lo, exec_lo, s1
	ds_bpermute_b32 v5, v17, v3
	ds_bpermute_b32 v6, v17, v4
	s_waitcnt lgkmcnt(0)
	buffer_gl0_inv
	v_cmp_lt_i64_e32 vcc_lo, v[5:6], v[3:4]
	v_cndmask_b32_e32 v4, v4, v6, vcc_lo
	v_cndmask_b32_e32 v3, v3, v5, vcc_lo
	ds_bpermute_b32 v6, v18, v4
	ds_bpermute_b32 v5, v18, v3
	s_waitcnt lgkmcnt(0)
	v_cmp_lt_i64_e32 vcc_lo, v[5:6], v[3:4]
	v_cndmask_b32_e32 v4, v4, v6, vcc_lo
	v_cndmask_b32_e32 v3, v3, v5, vcc_lo
	ds_bpermute_b32 v6, v19, v4
	ds_bpermute_b32 v5, v19, v3
	s_waitcnt lgkmcnt(0)
	;; [unrolled: 6-line block ×5, first 2 shown]
	v_cmp_lt_i64_e32 vcc_lo, v[5:6], v[3:4]
	v_cndmask_b32_e32 v3, v3, v5, vcc_lo
	ds_bpermute_b32 v5, v21, v3
	s_waitcnt lgkmcnt(0)
	v_ashrrev_i32_e32 v6, 31, v5
	v_cmp_le_i64_e32 vcc_lo, s[10:11], v[5:6]
	s_or_b32 s18, vcc_lo, s18
	s_andn2_b32 exec_lo, exec_lo, s18
	s_cbranch_execz .LBB27_21
.LBB27_7:                               ; =>This Loop Header: Depth=1
                                        ;     Child Loop BB27_10 Depth 2
	v_mov_b32_e32 v3, s10
	v_add_nc_u32_e32 v7, v1, v13
	v_mov_b32_e32 v4, s11
	v_mov_b32_e32 v1, v2
	s_mov_b32 s20, exec_lo
	ds_write_b8 v10, v0 offset:32
	s_waitcnt lgkmcnt(0)
	buffer_gl0_inv
	v_cmpx_lt_i32_e64 v7, v2
	s_cbranch_execz .LBB27_19
; %bb.8:                                ;   in Loop: Header=BB27_7 Depth=1
	v_mov_b32_e32 v3, s10
	v_mov_b32_e32 v4, s11
	;; [unrolled: 1-line block ×3, first 2 shown]
	s_mov_b32 s21, 0
	s_branch .LBB27_10
.LBB27_9:                               ;   in Loop: Header=BB27_10 Depth=2
	s_or_b32 exec_lo, exec_lo, s1
	v_add_nc_u32_e32 v7, 4, v7
	s_xor_b32 s15, vcc_lo, -1
	v_mov_b32_e32 v23, v1
	v_cmp_ge_i32_e64 s1, v7, v2
	s_or_b32 s1, s15, s1
	s_and_b32 s1, exec_lo, s1
	s_or_b32 s21, s1, s21
	s_andn2_b32 exec_lo, exec_lo, s21
	s_cbranch_execz .LBB27_18
.LBB27_10:                              ;   Parent Loop BB27_7 Depth=1
                                        ; =>  This Inner Loop Header: Depth=2
	v_ashrrev_i32_e32 v8, 31, v7
	s_mov_b32 s1, exec_lo
	v_lshlrev_b64 v[8:9], 3, v[7:8]
	v_add_co_u32 v8, vcc_lo, s12, v8
	v_add_co_ci_u32_e64 v9, null, s13, v9, vcc_lo
	global_load_dwordx2 v[8:9], v[8:9], off
	s_waitcnt vmcnt(0)
	v_sub_co_u32 v24, vcc_lo, v8, s7
	v_subrev_co_ci_u32_e64 v25, null, 0, v9, vcc_lo
                                        ; implicit-def: $vgpr8_vgpr9
	v_or_b32_e32 v1, s3, v25
	v_cmpx_ne_u64_e32 0, v[0:1]
	s_xor_b32 s22, exec_lo, s1
	s_cbranch_execz .LBB27_12
; %bb.11:                               ;   in Loop: Header=BB27_10 Depth=2
	s_add_u32 s16, s2, s14
	s_mov_b32 s15, s14
	s_addc_u32 s17, s3, s14
	v_ashrrev_i32_e32 v28, 31, v25
	s_xor_b64 s[16:17], s[16:17], s[14:15]
	v_cvt_f32_u32_e32 v1, s16
	v_cvt_f32_u32_e32 v8, s17
	s_sub_u32 s1, 0, s16
	s_subb_u32 s24, 0, s17
	v_add_co_u32 v9, vcc_lo, v24, v28
	v_fmac_f32_e32 v1, 0x4f800000, v8
	v_xor_b32_e32 v29, v9, v28
	v_rcp_f32_e32 v1, v1
	v_mul_f32_e32 v1, 0x5f7ffffc, v1
	v_mul_f32_e32 v8, 0x2f800000, v1
	v_trunc_f32_e32 v8, v8
	v_fmac_f32_e32 v1, 0xcf800000, v8
	v_cvt_u32_f32_e32 v8, v8
	v_cvt_u32_f32_e32 v1, v1
	v_readfirstlane_b32 s15, v8
	v_readfirstlane_b32 s23, v1
	s_mul_i32 s25, s1, s15
	v_add_co_ci_u32_e64 v1, null, v25, v28, vcc_lo
	s_mul_hi_u32 s27, s1, s23
	s_mul_i32 s26, s24, s23
	s_add_i32 s25, s27, s25
	s_mul_i32 s28, s1, s23
	s_add_i32 s25, s25, s26
	s_mul_hi_u32 s27, s23, s28
	s_mul_i32 s30, s23, s25
	s_mul_hi_u32 s29, s15, s28
	s_mul_i32 s26, s15, s28
	s_mul_hi_u32 s28, s23, s25
	s_add_u32 s27, s27, s30
	s_addc_u32 s28, 0, s28
	s_mul_hi_u32 s31, s15, s25
	s_add_u32 s26, s27, s26
	s_mul_i32 s25, s15, s25
	s_addc_u32 s26, s28, s29
	s_addc_u32 s27, s31, 0
	s_add_u32 s25, s26, s25
	s_addc_u32 s26, 0, s27
	s_add_u32 s23, s23, s25
	s_cselect_b32 s25, -1, 0
	s_mul_hi_u32 s27, s1, s23
	s_cmp_lg_u32 s25, 0
	s_mul_i32 s25, s1, s23
	s_addc_u32 s15, s15, s26
	s_mul_i32 s24, s24, s23
	s_mul_i32 s1, s1, s15
	s_mul_hi_u32 s26, s23, s25
	s_add_i32 s1, s27, s1
	s_mul_hi_u32 s27, s15, s25
	s_add_i32 s1, s1, s24
	s_mul_i32 s24, s15, s25
	s_mul_i32 s29, s23, s1
	s_mul_hi_u32 s28, s23, s1
	s_add_u32 s26, s26, s29
	s_addc_u32 s28, 0, s28
	s_mul_hi_u32 s25, s15, s1
	s_add_u32 s24, s26, s24
	s_mul_i32 s1, s15, s1
	s_addc_u32 s24, s28, s27
	s_addc_u32 s25, s25, 0
	s_add_u32 s1, s24, s1
	s_addc_u32 s24, 0, s25
	s_add_u32 s1, s23, s1
	s_cselect_b32 s23, -1, 0
	v_xor_b32_e32 v1, v1, v28
	s_cmp_lg_u32 s23, 0
	v_mul_hi_u32 v30, v29, s1
	s_addc_u32 s15, s15, s24
	v_mad_u64_u32 v[8:9], null, v29, s15, 0
	v_mad_u64_u32 v[24:25], null, v1, s1, 0
	;; [unrolled: 1-line block ×3, first 2 shown]
	v_add_co_u32 v8, vcc_lo, v30, v8
	v_add_co_ci_u32_e64 v9, null, 0, v9, vcc_lo
	v_add_co_u32 v8, vcc_lo, v8, v24
	v_add_co_ci_u32_e32 v8, vcc_lo, v9, v25, vcc_lo
	v_add_co_ci_u32_e32 v9, vcc_lo, 0, v27, vcc_lo
	v_add_co_u32 v24, vcc_lo, v8, v26
	v_add_co_ci_u32_e64 v25, null, 0, v9, vcc_lo
	v_mul_lo_u32 v26, s17, v24
	v_mad_u64_u32 v[8:9], null, s16, v24, 0
	v_mul_lo_u32 v27, s16, v25
	v_sub_co_u32 v8, vcc_lo, v29, v8
	v_add3_u32 v9, v9, v27, v26
	v_add_co_u32 v27, s1, v24, 2
	v_add_co_ci_u32_e64 v29, null, 0, v25, s1
	v_sub_nc_u32_e32 v26, v1, v9
	v_sub_co_u32 v30, s1, v8, s16
	v_sub_co_ci_u32_e64 v1, null, v1, v9, vcc_lo
	v_subrev_co_ci_u32_e64 v26, null, s17, v26, vcc_lo
	v_cmp_le_u32_e32 vcc_lo, s16, v30
	v_subrev_co_ci_u32_e64 v26, null, 0, v26, s1
	v_cndmask_b32_e64 v9, 0, -1, vcc_lo
	v_cmp_le_u32_e32 vcc_lo, s17, v26
	v_cndmask_b32_e64 v30, 0, -1, vcc_lo
	v_cmp_le_u32_e32 vcc_lo, s16, v8
	;; [unrolled: 2-line block ×3, first 2 shown]
	v_cndmask_b32_e64 v31, 0, -1, vcc_lo
	v_cmp_eq_u32_e32 vcc_lo, s17, v26
	v_cndmask_b32_e32 v9, v30, v9, vcc_lo
	v_add_co_u32 v26, vcc_lo, v24, 1
	v_add_co_ci_u32_e64 v30, null, 0, v25, vcc_lo
	v_cmp_eq_u32_e32 vcc_lo, s17, v1
	v_cndmask_b32_e32 v1, v31, v8, vcc_lo
	v_cmp_ne_u32_e32 vcc_lo, 0, v9
	v_xor_b32_e32 v9, s14, v28
	v_cmp_ne_u32_e64 s1, 0, v1
	v_cndmask_b32_e32 v1, v26, v27, vcc_lo
	v_cndmask_b32_e32 v8, v30, v29, vcc_lo
	v_cndmask_b32_e64 v1, v24, v1, s1
	v_cndmask_b32_e64 v8, v25, v8, s1
	v_xor_b32_e32 v1, v1, v9
	v_xor_b32_e32 v24, v8, v9
	v_sub_co_u32 v8, vcc_lo, v1, v9
	v_sub_co_ci_u32_e64 v9, null, v24, v9, vcc_lo
                                        ; implicit-def: $vgpr24
.LBB27_12:                              ;   in Loop: Header=BB27_10 Depth=2
	s_andn2_saveexec_b32 s1, s22
	s_cbranch_execz .LBB27_14
; %bb.13:                               ;   in Loop: Header=BB27_10 Depth=2
	v_cvt_f32_u32_e32 v1, s2
	v_rcp_iflag_f32_e32 v1, v1
	v_mul_f32_e32 v1, 0x4f7ffffe, v1
	v_cvt_u32_f32_e32 v1, v1
	v_mul_lo_u32 v8, s19, v1
	v_mul_hi_u32 v8, v1, v8
	v_add_nc_u32_e32 v1, v1, v8
	v_mul_hi_u32 v1, v24, v1
	v_mul_lo_u32 v8, v1, s2
	v_add_nc_u32_e32 v9, 1, v1
	v_sub_nc_u32_e32 v8, v24, v8
	v_subrev_nc_u32_e32 v24, s2, v8
	v_cmp_le_u32_e32 vcc_lo, s2, v8
	v_cndmask_b32_e32 v8, v8, v24, vcc_lo
	v_cndmask_b32_e32 v1, v1, v9, vcc_lo
	v_cmp_le_u32_e32 vcc_lo, s2, v8
	v_add_nc_u32_e32 v9, 1, v1
	v_cndmask_b32_e32 v8, v1, v9, vcc_lo
	v_mov_b32_e32 v9, v0
.LBB27_14:                              ;   in Loop: Header=BB27_10 Depth=2
	s_or_b32 exec_lo, exec_lo, s1
	s_mov_b32 s15, exec_lo
	v_cmp_eq_u64_e32 vcc_lo, v[8:9], v[5:6]
	v_cmpx_ne_u64_e64 v[8:9], v[5:6]
	s_xor_b32 s15, exec_lo, s15
; %bb.15:                               ;   in Loop: Header=BB27_10 Depth=2
	v_cmp_lt_i64_e64 s1, v[8:9], v[3:4]
                                        ; implicit-def: $vgpr23
	v_cndmask_b32_e64 v4, v4, v9, s1
	v_cndmask_b32_e64 v3, v3, v8, s1
; %bb.16:                               ;   in Loop: Header=BB27_10 Depth=2
	s_or_saveexec_b32 s1, s15
	v_mov_b32_e32 v1, v7
	s_xor_b32 exec_lo, exec_lo, s1
	s_cbranch_execz .LBB27_9
; %bb.17:                               ;   in Loop: Header=BB27_10 Depth=2
	v_mov_b32_e32 v1, v23
	ds_write_b8 v10, v22 offset:32
	s_branch .LBB27_9
.LBB27_18:                              ;   in Loop: Header=BB27_7 Depth=1
	s_or_b32 exec_lo, exec_lo, s21
.LBB27_19:                              ;   in Loop: Header=BB27_7 Depth=1
	s_or_b32 exec_lo, exec_lo, s20
	ds_bpermute_b32 v5, v14, v1
	s_waitcnt lgkmcnt(0)
	buffer_gl0_inv
	ds_read_u8 v6, v10 offset:32
	v_min_i32_e32 v1, v5, v1
	ds_bpermute_b32 v5, v15, v1
	s_waitcnt lgkmcnt(0)
	v_min_i32_e32 v1, v5, v1
	v_and_b32_e32 v5, 1, v6
	ds_bpermute_b32 v1, v16, v1
	v_cmp_eq_u32_e32 vcc_lo, 1, v5
	s_and_b32 s15, s0, vcc_lo
	s_and_saveexec_b32 s1, s15
	s_cbranch_execz .LBB27_6
; %bb.20:                               ;   in Loop: Header=BB27_7 Depth=1
	ds_read_b64 v[5:6], v11
	s_waitcnt lgkmcnt(0)
	v_add_co_u32 v5, vcc_lo, v5, 1
	v_add_co_ci_u32_e64 v6, null, 0, v6, vcc_lo
	ds_write_b64 v11, v[5:6]
	s_branch .LBB27_6
.LBB27_21:
	s_or_b32 exec_lo, exec_lo, s18
.LBB27_22:
	s_mov_b32 s0, exec_lo
	v_cmpx_eq_u32_e32 0, v12
	s_cbranch_execz .LBB27_25
; %bb.23:
	s_clause 0x1
	s_load_dword s2, s[4:5], 0x40
	s_load_dwordx2 s[0:1], s[4:5], 0x48
	v_mov_b32_e32 v1, 0
	v_lshl_or_b32 v0, s6, 2, v10
	v_cmp_gt_i64_e32 vcc_lo, s[8:9], v[0:1]
	s_waitcnt lgkmcnt(0)
	v_mov_b32_e32 v2, s2
	global_store_dword v1, v2, s[0:1]
	s_and_b32 exec_lo, exec_lo, vcc_lo
	s_cbranch_execz .LBB27_25
; %bb.24:
	ds_read_b32 v2, v11
	v_add_nc_u32_e32 v0, 1, v0
	v_lshlrev_b64 v[0:1], 2, v[0:1]
	v_add_co_u32 v0, vcc_lo, s0, v0
	v_add_co_ci_u32_e64 v1, null, s1, v1, vcc_lo
	s_waitcnt lgkmcnt(0)
	global_store_dword v[0:1], v2, off
.LBB27_25:
	s_endpgm
	.section	.rodata,"a",@progbits
	.p2align	6, 0x0
	.amdhsa_kernel _ZN9rocsparseL46csr2bsr_nnz_wavefront_per_row_multipass_kernelILj256ELj64ELj16EilEEvT3_S1_S1_S1_S1_21rocsparse_index_base_PKT2_PKS1_S2_PS3_
		.amdhsa_group_segment_fixed_size 40
		.amdhsa_private_segment_fixed_size 0
		.amdhsa_kernarg_size 80
		.amdhsa_user_sgpr_count 6
		.amdhsa_user_sgpr_private_segment_buffer 1
		.amdhsa_user_sgpr_dispatch_ptr 0
		.amdhsa_user_sgpr_queue_ptr 0
		.amdhsa_user_sgpr_kernarg_segment_ptr 1
		.amdhsa_user_sgpr_dispatch_id 0
		.amdhsa_user_sgpr_flat_scratch_init 0
		.amdhsa_user_sgpr_private_segment_size 0
		.amdhsa_wavefront_size32 1
		.amdhsa_uses_dynamic_stack 0
		.amdhsa_system_sgpr_private_segment_wavefront_offset 0
		.amdhsa_system_sgpr_workgroup_id_x 1
		.amdhsa_system_sgpr_workgroup_id_y 0
		.amdhsa_system_sgpr_workgroup_id_z 0
		.amdhsa_system_sgpr_workgroup_info 0
		.amdhsa_system_vgpr_workitem_id 0
		.amdhsa_next_free_vgpr 32
		.amdhsa_next_free_sgpr 32
		.amdhsa_reserve_vcc 1
		.amdhsa_reserve_flat_scratch 0
		.amdhsa_float_round_mode_32 0
		.amdhsa_float_round_mode_16_64 0
		.amdhsa_float_denorm_mode_32 3
		.amdhsa_float_denorm_mode_16_64 3
		.amdhsa_dx10_clamp 1
		.amdhsa_ieee_mode 1
		.amdhsa_fp16_overflow 0
		.amdhsa_workgroup_processor_mode 1
		.amdhsa_memory_ordered 1
		.amdhsa_forward_progress 1
		.amdhsa_shared_vgpr_count 0
		.amdhsa_exception_fp_ieee_invalid_op 0
		.amdhsa_exception_fp_denorm_src 0
		.amdhsa_exception_fp_ieee_div_zero 0
		.amdhsa_exception_fp_ieee_overflow 0
		.amdhsa_exception_fp_ieee_underflow 0
		.amdhsa_exception_fp_ieee_inexact 0
		.amdhsa_exception_int_div_zero 0
	.end_amdhsa_kernel
	.section	.text._ZN9rocsparseL46csr2bsr_nnz_wavefront_per_row_multipass_kernelILj256ELj64ELj16EilEEvT3_S1_S1_S1_S1_21rocsparse_index_base_PKT2_PKS1_S2_PS3_,"axG",@progbits,_ZN9rocsparseL46csr2bsr_nnz_wavefront_per_row_multipass_kernelILj256ELj64ELj16EilEEvT3_S1_S1_S1_S1_21rocsparse_index_base_PKT2_PKS1_S2_PS3_,comdat
.Lfunc_end27:
	.size	_ZN9rocsparseL46csr2bsr_nnz_wavefront_per_row_multipass_kernelILj256ELj64ELj16EilEEvT3_S1_S1_S1_S1_21rocsparse_index_base_PKT2_PKS1_S2_PS3_, .Lfunc_end27-_ZN9rocsparseL46csr2bsr_nnz_wavefront_per_row_multipass_kernelILj256ELj64ELj16EilEEvT3_S1_S1_S1_S1_21rocsparse_index_base_PKT2_PKS1_S2_PS3_
                                        ; -- End function
	.set _ZN9rocsparseL46csr2bsr_nnz_wavefront_per_row_multipass_kernelILj256ELj64ELj16EilEEvT3_S1_S1_S1_S1_21rocsparse_index_base_PKT2_PKS1_S2_PS3_.num_vgpr, 32
	.set _ZN9rocsparseL46csr2bsr_nnz_wavefront_per_row_multipass_kernelILj256ELj64ELj16EilEEvT3_S1_S1_S1_S1_21rocsparse_index_base_PKT2_PKS1_S2_PS3_.num_agpr, 0
	.set _ZN9rocsparseL46csr2bsr_nnz_wavefront_per_row_multipass_kernelILj256ELj64ELj16EilEEvT3_S1_S1_S1_S1_21rocsparse_index_base_PKT2_PKS1_S2_PS3_.numbered_sgpr, 32
	.set _ZN9rocsparseL46csr2bsr_nnz_wavefront_per_row_multipass_kernelILj256ELj64ELj16EilEEvT3_S1_S1_S1_S1_21rocsparse_index_base_PKT2_PKS1_S2_PS3_.num_named_barrier, 0
	.set _ZN9rocsparseL46csr2bsr_nnz_wavefront_per_row_multipass_kernelILj256ELj64ELj16EilEEvT3_S1_S1_S1_S1_21rocsparse_index_base_PKT2_PKS1_S2_PS3_.private_seg_size, 0
	.set _ZN9rocsparseL46csr2bsr_nnz_wavefront_per_row_multipass_kernelILj256ELj64ELj16EilEEvT3_S1_S1_S1_S1_21rocsparse_index_base_PKT2_PKS1_S2_PS3_.uses_vcc, 1
	.set _ZN9rocsparseL46csr2bsr_nnz_wavefront_per_row_multipass_kernelILj256ELj64ELj16EilEEvT3_S1_S1_S1_S1_21rocsparse_index_base_PKT2_PKS1_S2_PS3_.uses_flat_scratch, 0
	.set _ZN9rocsparseL46csr2bsr_nnz_wavefront_per_row_multipass_kernelILj256ELj64ELj16EilEEvT3_S1_S1_S1_S1_21rocsparse_index_base_PKT2_PKS1_S2_PS3_.has_dyn_sized_stack, 0
	.set _ZN9rocsparseL46csr2bsr_nnz_wavefront_per_row_multipass_kernelILj256ELj64ELj16EilEEvT3_S1_S1_S1_S1_21rocsparse_index_base_PKT2_PKS1_S2_PS3_.has_recursion, 0
	.set _ZN9rocsparseL46csr2bsr_nnz_wavefront_per_row_multipass_kernelILj256ELj64ELj16EilEEvT3_S1_S1_S1_S1_21rocsparse_index_base_PKT2_PKS1_S2_PS3_.has_indirect_call, 0
	.section	.AMDGPU.csdata,"",@progbits
; Kernel info:
; codeLenInByte = 1940
; TotalNumSgprs: 34
; NumVgprs: 32
; ScratchSize: 0
; MemoryBound: 0
; FloatMode: 240
; IeeeMode: 1
; LDSByteSize: 40 bytes/workgroup (compile time only)
; SGPRBlocks: 0
; VGPRBlocks: 3
; NumSGPRsForWavesPerEU: 34
; NumVGPRsForWavesPerEU: 32
; Occupancy: 16
; WaveLimiterHint : 0
; COMPUTE_PGM_RSRC2:SCRATCH_EN: 0
; COMPUTE_PGM_RSRC2:USER_SGPR: 6
; COMPUTE_PGM_RSRC2:TRAP_HANDLER: 0
; COMPUTE_PGM_RSRC2:TGID_X_EN: 1
; COMPUTE_PGM_RSRC2:TGID_Y_EN: 0
; COMPUTE_PGM_RSRC2:TGID_Z_EN: 0
; COMPUTE_PGM_RSRC2:TIDIG_COMP_CNT: 0
	.section	.text._ZN9rocsparseL46csr2bsr_nnz_wavefront_per_row_multipass_kernelILj256ELj32ELj16EilEEvT3_S1_S1_S1_S1_21rocsparse_index_base_PKT2_PKS1_S2_PS3_,"axG",@progbits,_ZN9rocsparseL46csr2bsr_nnz_wavefront_per_row_multipass_kernelILj256ELj32ELj16EilEEvT3_S1_S1_S1_S1_21rocsparse_index_base_PKT2_PKS1_S2_PS3_,comdat
	.globl	_ZN9rocsparseL46csr2bsr_nnz_wavefront_per_row_multipass_kernelILj256ELj32ELj16EilEEvT3_S1_S1_S1_S1_21rocsparse_index_base_PKT2_PKS1_S2_PS3_ ; -- Begin function _ZN9rocsparseL46csr2bsr_nnz_wavefront_per_row_multipass_kernelILj256ELj32ELj16EilEEvT3_S1_S1_S1_S1_21rocsparse_index_base_PKT2_PKS1_S2_PS3_
	.p2align	8
	.type	_ZN9rocsparseL46csr2bsr_nnz_wavefront_per_row_multipass_kernelILj256ELj32ELj16EilEEvT3_S1_S1_S1_S1_21rocsparse_index_base_PKT2_PKS1_S2_PS3_,@function
_ZN9rocsparseL46csr2bsr_nnz_wavefront_per_row_multipass_kernelILj256ELj32ELj16EilEEvT3_S1_S1_S1_S1_21rocsparse_index_base_PKT2_PKS1_S2_PS3_: ; @_ZN9rocsparseL46csr2bsr_nnz_wavefront_per_row_multipass_kernelILj256ELj32ELj16EilEEvT3_S1_S1_S1_S1_21rocsparse_index_base_PKT2_PKS1_S2_PS3_
; %bb.0:
	s_load_dwordx2 s[2:3], s[4:5], 0x20
	v_lshrrev_b32_e32 v10, 5, v0
	s_ashr_i32 s7, s6, 31
	s_clause 0x1
	s_load_dwordx2 s[14:15], s[4:5], 0x0
	s_load_dwordx4 s[8:11], s[4:5], 0x10
	s_lshl_b64 s[0:1], s[6:7], 3
	v_mov_b32_e32 v2, 0
	v_or_b32_e32 v3, s0, v10
	v_bfe_u32 v1, v0, 1, 4
	s_clause 0x1
	s_load_dword s7, s[4:5], 0x28
	s_load_dwordx2 s[12:13], s[4:5], 0x30
	v_lshlrev_b32_e32 v11, 3, v10
	v_mov_b32_e32 v6, v2
	s_waitcnt lgkmcnt(0)
	v_mul_lo_u32 v5, v3, s3
	v_mad_u64_u32 v[3:4], null, v3, s2, v[1:2]
	s_mul_i32 s0, s1, s2
	v_add3_u32 v4, s0, v4, v5
	v_cmp_gt_i64_e64 s0, s[2:3], v[1:2]
	v_mov_b32_e32 v5, v2
	v_mov_b32_e32 v1, 0
	v_cmp_gt_i64_e32 vcc_lo, s[14:15], v[3:4]
	ds_write_b64 v11, v[5:6]
	s_waitcnt lgkmcnt(0)
	s_barrier
	buffer_gl0_inv
	s_and_b32 s0, s0, vcc_lo
	s_and_saveexec_b32 s1, s0
	s_cbranch_execz .LBB28_2
; %bb.1:
	v_lshlrev_b64 v[5:6], 2, v[3:4]
	v_add_co_u32 v5, vcc_lo, s12, v5
	v_add_co_ci_u32_e64 v6, null, s13, v6, vcc_lo
	global_load_dword v1, v[5:6], off
	s_waitcnt vmcnt(0)
	v_subrev_nc_u32_e32 v1, s7, v1
.LBB28_2:
	s_or_b32 exec_lo, exec_lo, s1
	s_and_saveexec_b32 s1, s0
	s_cbranch_execz .LBB28_4
; %bb.3:
	v_lshlrev_b64 v[2:3], 2, v[3:4]
	v_add_co_u32 v2, vcc_lo, s12, v2
	v_add_co_ci_u32_e64 v3, null, s13, v3, vcc_lo
	global_load_dword v2, v[2:3], off offset:4
	s_waitcnt vmcnt(0)
	v_subrev_nc_u32_e32 v2, s7, v2
.LBB28_4:
	s_or_b32 exec_lo, exec_lo, s1
	v_cmp_lt_i64_e64 s0, s[10:11], 1
	v_and_b32_e32 v12, 31, v0
	s_and_b32 vcc_lo, exec_lo, s0
	v_cmp_eq_u32_e64 s0, 0, v12
	s_cbranch_vccnz .LBB28_22
; %bb.5:
	v_mbcnt_lo_u32_b32 v3, -1, 0
	v_and_b32_e32 v13, 1, v0
	s_load_dwordx2 s[12:13], s[4:5], 0x38
	v_mov_b32_e32 v20, 0x7c
	v_mov_b32_e32 v21, 1
	v_xor_b32_e32 v0, 1, v3
	v_xor_b32_e32 v4, 16, v3
	;; [unrolled: 1-line block ×5, first 2 shown]
	v_cmp_gt_i32_e32 vcc_lo, 32, v0
	v_lshl_or_b32 v15, v3, 2, 4
	s_mov_b32 s18, 0
	s_ashr_i32 s14, s3, 31
	s_sub_i32 s19, 0, s2
	v_cndmask_b32_e32 v0, v3, v0, vcc_lo
	v_cmp_gt_i32_e32 vcc_lo, 32, v4
	v_lshlrev_b32_e32 v14, 2, v0
	v_cndmask_b32_e32 v4, v3, v4, vcc_lo
	v_cmp_gt_i32_e32 vcc_lo, 32, v5
	v_lshlrev_b32_e32 v16, 2, v4
	;; [unrolled: 3-line block ×4, first 2 shown]
	v_cndmask_b32_e32 v6, v3, v7, vcc_lo
	v_mov_b32_e32 v0, 0
	v_lshlrev_b32_e32 v19, 2, v6
	v_mov_b32_e32 v5, 0
	v_mov_b32_e32 v6, 0
	s_branch .LBB28_7
.LBB28_6:                               ;   in Loop: Header=BB28_7 Depth=1
	s_or_b32 exec_lo, exec_lo, s1
	ds_bpermute_b32 v5, v16, v3
	ds_bpermute_b32 v6, v16, v4
	s_waitcnt lgkmcnt(0)
	buffer_gl0_inv
	v_cmp_lt_i64_e32 vcc_lo, v[5:6], v[3:4]
	v_cndmask_b32_e32 v4, v4, v6, vcc_lo
	v_cndmask_b32_e32 v3, v3, v5, vcc_lo
	ds_bpermute_b32 v6, v17, v4
	ds_bpermute_b32 v5, v17, v3
	s_waitcnt lgkmcnt(0)
	v_cmp_lt_i64_e32 vcc_lo, v[5:6], v[3:4]
	v_cndmask_b32_e32 v4, v4, v6, vcc_lo
	v_cndmask_b32_e32 v3, v3, v5, vcc_lo
	ds_bpermute_b32 v6, v18, v4
	ds_bpermute_b32 v5, v18, v3
	s_waitcnt lgkmcnt(0)
	;; [unrolled: 6-line block ×4, first 2 shown]
	v_cmp_lt_i64_e32 vcc_lo, v[5:6], v[3:4]
	v_cndmask_b32_e32 v3, v3, v5, vcc_lo
	ds_bpermute_b32 v5, v20, v3
	s_waitcnt lgkmcnt(0)
	v_ashrrev_i32_e32 v6, 31, v5
	v_cmp_le_i64_e32 vcc_lo, s[10:11], v[5:6]
	s_or_b32 s18, vcc_lo, s18
	s_andn2_b32 exec_lo, exec_lo, s18
	s_cbranch_execz .LBB28_21
.LBB28_7:                               ; =>This Loop Header: Depth=1
                                        ;     Child Loop BB28_10 Depth 2
	v_mov_b32_e32 v3, s10
	v_add_nc_u32_e32 v7, v1, v13
	v_mov_b32_e32 v4, s11
	v_mov_b32_e32 v1, v2
	s_mov_b32 s20, exec_lo
	ds_write_b8 v10, v0 offset:64
	s_waitcnt lgkmcnt(0)
	buffer_gl0_inv
	v_cmpx_lt_i32_e64 v7, v2
	s_cbranch_execz .LBB28_19
; %bb.8:                                ;   in Loop: Header=BB28_7 Depth=1
	v_mov_b32_e32 v3, s10
	v_mov_b32_e32 v4, s11
	;; [unrolled: 1-line block ×3, first 2 shown]
	s_mov_b32 s21, 0
	s_branch .LBB28_10
.LBB28_9:                               ;   in Loop: Header=BB28_10 Depth=2
	s_or_b32 exec_lo, exec_lo, s1
	v_add_nc_u32_e32 v7, 2, v7
	s_xor_b32 s15, vcc_lo, -1
	v_mov_b32_e32 v22, v1
	v_cmp_ge_i32_e64 s1, v7, v2
	s_or_b32 s1, s15, s1
	s_and_b32 s1, exec_lo, s1
	s_or_b32 s21, s1, s21
	s_andn2_b32 exec_lo, exec_lo, s21
	s_cbranch_execz .LBB28_18
.LBB28_10:                              ;   Parent Loop BB28_7 Depth=1
                                        ; =>  This Inner Loop Header: Depth=2
	v_ashrrev_i32_e32 v8, 31, v7
	s_mov_b32 s1, exec_lo
	v_lshlrev_b64 v[8:9], 3, v[7:8]
	v_add_co_u32 v8, vcc_lo, s12, v8
	v_add_co_ci_u32_e64 v9, null, s13, v9, vcc_lo
	global_load_dwordx2 v[8:9], v[8:9], off
	s_waitcnt vmcnt(0)
	v_sub_co_u32 v23, vcc_lo, v8, s7
	v_subrev_co_ci_u32_e64 v24, null, 0, v9, vcc_lo
                                        ; implicit-def: $vgpr8_vgpr9
	v_or_b32_e32 v1, s3, v24
	v_cmpx_ne_u64_e32 0, v[0:1]
	s_xor_b32 s22, exec_lo, s1
	s_cbranch_execz .LBB28_12
; %bb.11:                               ;   in Loop: Header=BB28_10 Depth=2
	s_add_u32 s16, s2, s14
	s_mov_b32 s15, s14
	s_addc_u32 s17, s3, s14
	v_ashrrev_i32_e32 v27, 31, v24
	s_xor_b64 s[16:17], s[16:17], s[14:15]
	v_cvt_f32_u32_e32 v1, s16
	v_cvt_f32_u32_e32 v8, s17
	s_sub_u32 s1, 0, s16
	s_subb_u32 s24, 0, s17
	v_add_co_u32 v9, vcc_lo, v23, v27
	v_fmac_f32_e32 v1, 0x4f800000, v8
	v_xor_b32_e32 v28, v9, v27
	v_rcp_f32_e32 v1, v1
	v_mul_f32_e32 v1, 0x5f7ffffc, v1
	v_mul_f32_e32 v8, 0x2f800000, v1
	v_trunc_f32_e32 v8, v8
	v_fmac_f32_e32 v1, 0xcf800000, v8
	v_cvt_u32_f32_e32 v8, v8
	v_cvt_u32_f32_e32 v1, v1
	v_readfirstlane_b32 s15, v8
	v_readfirstlane_b32 s23, v1
	s_mul_i32 s25, s1, s15
	v_add_co_ci_u32_e64 v1, null, v24, v27, vcc_lo
	s_mul_hi_u32 s27, s1, s23
	s_mul_i32 s26, s24, s23
	s_add_i32 s25, s27, s25
	s_mul_i32 s28, s1, s23
	s_add_i32 s25, s25, s26
	s_mul_hi_u32 s27, s23, s28
	s_mul_i32 s30, s23, s25
	s_mul_hi_u32 s29, s15, s28
	s_mul_i32 s26, s15, s28
	s_mul_hi_u32 s28, s23, s25
	s_add_u32 s27, s27, s30
	s_addc_u32 s28, 0, s28
	s_mul_hi_u32 s31, s15, s25
	s_add_u32 s26, s27, s26
	s_mul_i32 s25, s15, s25
	s_addc_u32 s26, s28, s29
	s_addc_u32 s27, s31, 0
	s_add_u32 s25, s26, s25
	s_addc_u32 s26, 0, s27
	s_add_u32 s23, s23, s25
	s_cselect_b32 s25, -1, 0
	s_mul_hi_u32 s27, s1, s23
	s_cmp_lg_u32 s25, 0
	s_mul_i32 s25, s1, s23
	s_addc_u32 s15, s15, s26
	s_mul_i32 s24, s24, s23
	s_mul_i32 s1, s1, s15
	s_mul_hi_u32 s26, s23, s25
	s_add_i32 s1, s27, s1
	s_mul_hi_u32 s27, s15, s25
	s_add_i32 s1, s1, s24
	s_mul_i32 s24, s15, s25
	s_mul_i32 s29, s23, s1
	s_mul_hi_u32 s28, s23, s1
	s_add_u32 s26, s26, s29
	s_addc_u32 s28, 0, s28
	s_mul_hi_u32 s25, s15, s1
	s_add_u32 s24, s26, s24
	s_mul_i32 s1, s15, s1
	s_addc_u32 s24, s28, s27
	s_addc_u32 s25, s25, 0
	s_add_u32 s1, s24, s1
	s_addc_u32 s24, 0, s25
	s_add_u32 s1, s23, s1
	s_cselect_b32 s23, -1, 0
	v_xor_b32_e32 v1, v1, v27
	s_cmp_lg_u32 s23, 0
	v_mul_hi_u32 v29, v28, s1
	s_addc_u32 s15, s15, s24
	v_mad_u64_u32 v[8:9], null, v28, s15, 0
	v_mad_u64_u32 v[23:24], null, v1, s1, 0
	;; [unrolled: 1-line block ×3, first 2 shown]
	v_add_co_u32 v8, vcc_lo, v29, v8
	v_add_co_ci_u32_e64 v9, null, 0, v9, vcc_lo
	v_add_co_u32 v8, vcc_lo, v8, v23
	v_add_co_ci_u32_e32 v8, vcc_lo, v9, v24, vcc_lo
	v_add_co_ci_u32_e32 v9, vcc_lo, 0, v26, vcc_lo
	v_add_co_u32 v23, vcc_lo, v8, v25
	v_add_co_ci_u32_e64 v24, null, 0, v9, vcc_lo
	v_mul_lo_u32 v25, s17, v23
	v_mad_u64_u32 v[8:9], null, s16, v23, 0
	v_mul_lo_u32 v26, s16, v24
	v_sub_co_u32 v8, vcc_lo, v28, v8
	v_add3_u32 v9, v9, v26, v25
	v_add_co_u32 v26, s1, v23, 2
	v_add_co_ci_u32_e64 v28, null, 0, v24, s1
	v_sub_nc_u32_e32 v25, v1, v9
	v_sub_co_u32 v29, s1, v8, s16
	v_sub_co_ci_u32_e64 v1, null, v1, v9, vcc_lo
	v_subrev_co_ci_u32_e64 v25, null, s17, v25, vcc_lo
	v_cmp_le_u32_e32 vcc_lo, s16, v29
	v_subrev_co_ci_u32_e64 v25, null, 0, v25, s1
	v_cndmask_b32_e64 v9, 0, -1, vcc_lo
	v_cmp_le_u32_e32 vcc_lo, s17, v25
	v_cndmask_b32_e64 v29, 0, -1, vcc_lo
	v_cmp_le_u32_e32 vcc_lo, s16, v8
	;; [unrolled: 2-line block ×3, first 2 shown]
	v_cndmask_b32_e64 v30, 0, -1, vcc_lo
	v_cmp_eq_u32_e32 vcc_lo, s17, v25
	v_cndmask_b32_e32 v9, v29, v9, vcc_lo
	v_add_co_u32 v25, vcc_lo, v23, 1
	v_add_co_ci_u32_e64 v29, null, 0, v24, vcc_lo
	v_cmp_eq_u32_e32 vcc_lo, s17, v1
	v_cndmask_b32_e32 v1, v30, v8, vcc_lo
	v_cmp_ne_u32_e32 vcc_lo, 0, v9
	v_xor_b32_e32 v9, s14, v27
	v_cmp_ne_u32_e64 s1, 0, v1
	v_cndmask_b32_e32 v1, v25, v26, vcc_lo
	v_cndmask_b32_e32 v8, v29, v28, vcc_lo
	v_cndmask_b32_e64 v1, v23, v1, s1
	v_cndmask_b32_e64 v8, v24, v8, s1
	v_xor_b32_e32 v1, v1, v9
	v_xor_b32_e32 v23, v8, v9
	v_sub_co_u32 v8, vcc_lo, v1, v9
	v_sub_co_ci_u32_e64 v9, null, v23, v9, vcc_lo
                                        ; implicit-def: $vgpr23
.LBB28_12:                              ;   in Loop: Header=BB28_10 Depth=2
	s_andn2_saveexec_b32 s1, s22
	s_cbranch_execz .LBB28_14
; %bb.13:                               ;   in Loop: Header=BB28_10 Depth=2
	v_cvt_f32_u32_e32 v1, s2
	v_rcp_iflag_f32_e32 v1, v1
	v_mul_f32_e32 v1, 0x4f7ffffe, v1
	v_cvt_u32_f32_e32 v1, v1
	v_mul_lo_u32 v8, s19, v1
	v_mul_hi_u32 v8, v1, v8
	v_add_nc_u32_e32 v1, v1, v8
	v_mul_hi_u32 v1, v23, v1
	v_mul_lo_u32 v8, v1, s2
	v_add_nc_u32_e32 v9, 1, v1
	v_sub_nc_u32_e32 v8, v23, v8
	v_subrev_nc_u32_e32 v23, s2, v8
	v_cmp_le_u32_e32 vcc_lo, s2, v8
	v_cndmask_b32_e32 v8, v8, v23, vcc_lo
	v_cndmask_b32_e32 v1, v1, v9, vcc_lo
	v_cmp_le_u32_e32 vcc_lo, s2, v8
	v_add_nc_u32_e32 v9, 1, v1
	v_cndmask_b32_e32 v8, v1, v9, vcc_lo
	v_mov_b32_e32 v9, v0
.LBB28_14:                              ;   in Loop: Header=BB28_10 Depth=2
	s_or_b32 exec_lo, exec_lo, s1
	s_mov_b32 s15, exec_lo
	v_cmp_eq_u64_e32 vcc_lo, v[8:9], v[5:6]
	v_cmpx_ne_u64_e64 v[8:9], v[5:6]
	s_xor_b32 s15, exec_lo, s15
; %bb.15:                               ;   in Loop: Header=BB28_10 Depth=2
	v_cmp_lt_i64_e64 s1, v[8:9], v[3:4]
                                        ; implicit-def: $vgpr22
	v_cndmask_b32_e64 v4, v4, v9, s1
	v_cndmask_b32_e64 v3, v3, v8, s1
; %bb.16:                               ;   in Loop: Header=BB28_10 Depth=2
	s_or_saveexec_b32 s1, s15
	v_mov_b32_e32 v1, v7
	s_xor_b32 exec_lo, exec_lo, s1
	s_cbranch_execz .LBB28_9
; %bb.17:                               ;   in Loop: Header=BB28_10 Depth=2
	v_mov_b32_e32 v1, v22
	ds_write_b8 v10, v21 offset:64
	s_branch .LBB28_9
.LBB28_18:                              ;   in Loop: Header=BB28_7 Depth=1
	s_or_b32 exec_lo, exec_lo, s21
.LBB28_19:                              ;   in Loop: Header=BB28_7 Depth=1
	s_or_b32 exec_lo, exec_lo, s20
	ds_bpermute_b32 v5, v14, v1
	s_waitcnt lgkmcnt(0)
	buffer_gl0_inv
	ds_read_u8 v6, v10 offset:64
	v_min_i32_e32 v1, v5, v1
	s_waitcnt lgkmcnt(0)
	v_and_b32_e32 v5, 1, v6
	ds_bpermute_b32 v1, v15, v1
	v_cmp_eq_u32_e32 vcc_lo, 1, v5
	s_and_b32 s15, s0, vcc_lo
	s_and_saveexec_b32 s1, s15
	s_cbranch_execz .LBB28_6
; %bb.20:                               ;   in Loop: Header=BB28_7 Depth=1
	ds_read_b64 v[5:6], v11
	s_waitcnt lgkmcnt(0)
	v_add_co_u32 v5, vcc_lo, v5, 1
	v_add_co_ci_u32_e64 v6, null, 0, v6, vcc_lo
	ds_write_b64 v11, v[5:6]
	s_branch .LBB28_6
.LBB28_21:
	s_or_b32 exec_lo, exec_lo, s18
.LBB28_22:
	s_mov_b32 s0, exec_lo
	v_cmpx_eq_u32_e32 0, v12
	s_cbranch_execz .LBB28_25
; %bb.23:
	s_clause 0x1
	s_load_dword s2, s[4:5], 0x40
	s_load_dwordx2 s[0:1], s[4:5], 0x48
	v_mov_b32_e32 v1, 0
	v_lshl_or_b32 v0, s6, 3, v10
	v_cmp_gt_i64_e32 vcc_lo, s[8:9], v[0:1]
	s_waitcnt lgkmcnt(0)
	v_mov_b32_e32 v2, s2
	global_store_dword v1, v2, s[0:1]
	s_and_b32 exec_lo, exec_lo, vcc_lo
	s_cbranch_execz .LBB28_25
; %bb.24:
	ds_read_b32 v2, v11
	v_add_nc_u32_e32 v0, 1, v0
	v_lshlrev_b64 v[0:1], 2, v[0:1]
	v_add_co_u32 v0, vcc_lo, s0, v0
	v_add_co_ci_u32_e64 v1, null, s1, v1, vcc_lo
	s_waitcnt lgkmcnt(0)
	global_store_dword v[0:1], v2, off
.LBB28_25:
	s_endpgm
	.section	.rodata,"a",@progbits
	.p2align	6, 0x0
	.amdhsa_kernel _ZN9rocsparseL46csr2bsr_nnz_wavefront_per_row_multipass_kernelILj256ELj32ELj16EilEEvT3_S1_S1_S1_S1_21rocsparse_index_base_PKT2_PKS1_S2_PS3_
		.amdhsa_group_segment_fixed_size 72
		.amdhsa_private_segment_fixed_size 0
		.amdhsa_kernarg_size 80
		.amdhsa_user_sgpr_count 6
		.amdhsa_user_sgpr_private_segment_buffer 1
		.amdhsa_user_sgpr_dispatch_ptr 0
		.amdhsa_user_sgpr_queue_ptr 0
		.amdhsa_user_sgpr_kernarg_segment_ptr 1
		.amdhsa_user_sgpr_dispatch_id 0
		.amdhsa_user_sgpr_flat_scratch_init 0
		.amdhsa_user_sgpr_private_segment_size 0
		.amdhsa_wavefront_size32 1
		.amdhsa_uses_dynamic_stack 0
		.amdhsa_system_sgpr_private_segment_wavefront_offset 0
		.amdhsa_system_sgpr_workgroup_id_x 1
		.amdhsa_system_sgpr_workgroup_id_y 0
		.amdhsa_system_sgpr_workgroup_id_z 0
		.amdhsa_system_sgpr_workgroup_info 0
		.amdhsa_system_vgpr_workitem_id 0
		.amdhsa_next_free_vgpr 31
		.amdhsa_next_free_sgpr 32
		.amdhsa_reserve_vcc 1
		.amdhsa_reserve_flat_scratch 0
		.amdhsa_float_round_mode_32 0
		.amdhsa_float_round_mode_16_64 0
		.amdhsa_float_denorm_mode_32 3
		.amdhsa_float_denorm_mode_16_64 3
		.amdhsa_dx10_clamp 1
		.amdhsa_ieee_mode 1
		.amdhsa_fp16_overflow 0
		.amdhsa_workgroup_processor_mode 1
		.amdhsa_memory_ordered 1
		.amdhsa_forward_progress 1
		.amdhsa_shared_vgpr_count 0
		.amdhsa_exception_fp_ieee_invalid_op 0
		.amdhsa_exception_fp_denorm_src 0
		.amdhsa_exception_fp_ieee_div_zero 0
		.amdhsa_exception_fp_ieee_overflow 0
		.amdhsa_exception_fp_ieee_underflow 0
		.amdhsa_exception_fp_ieee_inexact 0
		.amdhsa_exception_int_div_zero 0
	.end_amdhsa_kernel
	.section	.text._ZN9rocsparseL46csr2bsr_nnz_wavefront_per_row_multipass_kernelILj256ELj32ELj16EilEEvT3_S1_S1_S1_S1_21rocsparse_index_base_PKT2_PKS1_S2_PS3_,"axG",@progbits,_ZN9rocsparseL46csr2bsr_nnz_wavefront_per_row_multipass_kernelILj256ELj32ELj16EilEEvT3_S1_S1_S1_S1_21rocsparse_index_base_PKT2_PKS1_S2_PS3_,comdat
.Lfunc_end28:
	.size	_ZN9rocsparseL46csr2bsr_nnz_wavefront_per_row_multipass_kernelILj256ELj32ELj16EilEEvT3_S1_S1_S1_S1_21rocsparse_index_base_PKT2_PKS1_S2_PS3_, .Lfunc_end28-_ZN9rocsparseL46csr2bsr_nnz_wavefront_per_row_multipass_kernelILj256ELj32ELj16EilEEvT3_S1_S1_S1_S1_21rocsparse_index_base_PKT2_PKS1_S2_PS3_
                                        ; -- End function
	.set _ZN9rocsparseL46csr2bsr_nnz_wavefront_per_row_multipass_kernelILj256ELj32ELj16EilEEvT3_S1_S1_S1_S1_21rocsparse_index_base_PKT2_PKS1_S2_PS3_.num_vgpr, 31
	.set _ZN9rocsparseL46csr2bsr_nnz_wavefront_per_row_multipass_kernelILj256ELj32ELj16EilEEvT3_S1_S1_S1_S1_21rocsparse_index_base_PKT2_PKS1_S2_PS3_.num_agpr, 0
	.set _ZN9rocsparseL46csr2bsr_nnz_wavefront_per_row_multipass_kernelILj256ELj32ELj16EilEEvT3_S1_S1_S1_S1_21rocsparse_index_base_PKT2_PKS1_S2_PS3_.numbered_sgpr, 32
	.set _ZN9rocsparseL46csr2bsr_nnz_wavefront_per_row_multipass_kernelILj256ELj32ELj16EilEEvT3_S1_S1_S1_S1_21rocsparse_index_base_PKT2_PKS1_S2_PS3_.num_named_barrier, 0
	.set _ZN9rocsparseL46csr2bsr_nnz_wavefront_per_row_multipass_kernelILj256ELj32ELj16EilEEvT3_S1_S1_S1_S1_21rocsparse_index_base_PKT2_PKS1_S2_PS3_.private_seg_size, 0
	.set _ZN9rocsparseL46csr2bsr_nnz_wavefront_per_row_multipass_kernelILj256ELj32ELj16EilEEvT3_S1_S1_S1_S1_21rocsparse_index_base_PKT2_PKS1_S2_PS3_.uses_vcc, 1
	.set _ZN9rocsparseL46csr2bsr_nnz_wavefront_per_row_multipass_kernelILj256ELj32ELj16EilEEvT3_S1_S1_S1_S1_21rocsparse_index_base_PKT2_PKS1_S2_PS3_.uses_flat_scratch, 0
	.set _ZN9rocsparseL46csr2bsr_nnz_wavefront_per_row_multipass_kernelILj256ELj32ELj16EilEEvT3_S1_S1_S1_S1_21rocsparse_index_base_PKT2_PKS1_S2_PS3_.has_dyn_sized_stack, 0
	.set _ZN9rocsparseL46csr2bsr_nnz_wavefront_per_row_multipass_kernelILj256ELj32ELj16EilEEvT3_S1_S1_S1_S1_21rocsparse_index_base_PKT2_PKS1_S2_PS3_.has_recursion, 0
	.set _ZN9rocsparseL46csr2bsr_nnz_wavefront_per_row_multipass_kernelILj256ELj32ELj16EilEEvT3_S1_S1_S1_S1_21rocsparse_index_base_PKT2_PKS1_S2_PS3_.has_indirect_call, 0
	.section	.AMDGPU.csdata,"",@progbits
; Kernel info:
; codeLenInByte = 1884
; TotalNumSgprs: 34
; NumVgprs: 31
; ScratchSize: 0
; MemoryBound: 0
; FloatMode: 240
; IeeeMode: 1
; LDSByteSize: 72 bytes/workgroup (compile time only)
; SGPRBlocks: 0
; VGPRBlocks: 3
; NumSGPRsForWavesPerEU: 34
; NumVGPRsForWavesPerEU: 31
; Occupancy: 16
; WaveLimiterHint : 0
; COMPUTE_PGM_RSRC2:SCRATCH_EN: 0
; COMPUTE_PGM_RSRC2:USER_SGPR: 6
; COMPUTE_PGM_RSRC2:TRAP_HANDLER: 0
; COMPUTE_PGM_RSRC2:TGID_X_EN: 1
; COMPUTE_PGM_RSRC2:TGID_Y_EN: 0
; COMPUTE_PGM_RSRC2:TGID_Z_EN: 0
; COMPUTE_PGM_RSRC2:TIDIG_COMP_CNT: 0
	.section	.text._ZN9rocsparseL42csr2bsr_nnz_block_per_row_multipass_kernelILj256ELj32EilEEvT2_S1_S1_S1_S1_21rocsparse_index_base_PKT1_PKS1_S2_PS3_,"axG",@progbits,_ZN9rocsparseL42csr2bsr_nnz_block_per_row_multipass_kernelILj256ELj32EilEEvT2_S1_S1_S1_S1_21rocsparse_index_base_PKT1_PKS1_S2_PS3_,comdat
	.globl	_ZN9rocsparseL42csr2bsr_nnz_block_per_row_multipass_kernelILj256ELj32EilEEvT2_S1_S1_S1_S1_21rocsparse_index_base_PKT1_PKS1_S2_PS3_ ; -- Begin function _ZN9rocsparseL42csr2bsr_nnz_block_per_row_multipass_kernelILj256ELj32EilEEvT2_S1_S1_S1_S1_21rocsparse_index_base_PKT1_PKS1_S2_PS3_
	.p2align	8
	.type	_ZN9rocsparseL42csr2bsr_nnz_block_per_row_multipass_kernelILj256ELj32EilEEvT2_S1_S1_S1_S1_21rocsparse_index_base_PKT1_PKS1_S2_PS3_,@function
_ZN9rocsparseL42csr2bsr_nnz_block_per_row_multipass_kernelILj256ELj32EilEEvT2_S1_S1_S1_S1_21rocsparse_index_base_PKT1_PKS1_S2_PS3_: ; @_ZN9rocsparseL42csr2bsr_nnz_block_per_row_multipass_kernelILj256ELj32EilEEvT2_S1_S1_S1_S1_21rocsparse_index_base_PKT1_PKS1_S2_PS3_
; %bb.0:
	s_clause 0x1
	s_load_dwordx4 s[16:19], s[4:5], 0x18
	s_load_dwordx2 s[0:1], s[4:5], 0x0
	v_mov_b32_e32 v2, 0
	v_lshrrev_b32_e32 v1, 3, v0
	s_clause 0x1
	s_load_dword s13, s[4:5], 0x28
	s_load_dwordx2 s[2:3], s[4:5], 0x30
	s_ashr_i32 s7, s6, 31
	v_mov_b32_e32 v9, 0
	v_mov_b32_e32 v5, v2
	;; [unrolled: 1-line block ×3, first 2 shown]
	ds_write_b64 v2, v[5:6] offset:2048
	s_waitcnt lgkmcnt(0)
	s_barrier
	buffer_gl0_inv
	v_mad_u64_u32 v[3:4], null, s18, s6, v[1:2]
	s_mul_i32 s8, s19, s6
	s_mul_i32 s9, s18, s7
	v_add3_u32 v4, s9, s8, v4
	v_cmp_gt_i64_e32 vcc_lo, s[0:1], v[3:4]
	v_cmp_gt_i64_e64 s0, s[18:19], v[1:2]
	s_and_b32 s0, s0, vcc_lo
	s_and_saveexec_b32 s1, s0
	s_cbranch_execz .LBB29_2
; %bb.1:
	v_lshlrev_b64 v[5:6], 2, v[3:4]
	v_add_co_u32 v5, vcc_lo, s2, v5
	v_add_co_ci_u32_e64 v6, null, s3, v6, vcc_lo
	global_load_dword v1, v[5:6], off
	s_waitcnt vmcnt(0)
	v_subrev_nc_u32_e32 v9, s13, v1
.LBB29_2:
	s_or_b32 exec_lo, exec_lo, s1
	s_and_saveexec_b32 s1, s0
	s_cbranch_execz .LBB29_4
; %bb.3:
	v_lshlrev_b64 v[1:2], 2, v[3:4]
	v_add_co_u32 v1, vcc_lo, s2, v1
	v_add_co_ci_u32_e64 v2, null, s3, v2, vcc_lo
	global_load_dword v1, v[1:2], off offset:4
	s_waitcnt vmcnt(0)
	v_subrev_nc_u32_e32 v2, s13, v1
.LBB29_4:
	s_or_b32 exec_lo, exec_lo, s1
	v_cmp_lt_i64_e64 s0, s[16:17], 1
	s_and_b32 vcc_lo, exec_lo, s0
	v_cmp_eq_u32_e64 s0, 0, v0
	s_cbranch_vccnz .LBB29_37
; %bb.5:
	v_mbcnt_lo_u32_b32 v3, -1, 0
	v_cvt_f32_u32_e32 v5, s18
	s_load_dwordx2 s[14:15], s[4:5], 0x38
	v_lshlrev_b32_e32 v16, 3, v0
	v_cmp_gt_u32_e64 s1, 0x80, v0
	v_xor_b32_e32 v1, 4, v3
	v_xor_b32_e32 v4, 2, v3
	;; [unrolled: 1-line block ×3, first 2 shown]
	v_rcp_iflag_f32_e32 v5, v5
	v_lshl_or_b32 v15, v3, 2, 28
	v_cmp_gt_i32_e32 vcc_lo, 32, v1
	v_cmp_gt_u32_e64 s2, 64, v0
	v_cmp_gt_u32_e64 s3, 32, v0
	;; [unrolled: 1-line block ×4, first 2 shown]
	v_cndmask_b32_e32 v7, v3, v1, vcc_lo
	v_cmp_gt_i32_e32 vcc_lo, 32, v4
	v_and_b32_e32 v1, 7, v0
	v_cmp_gt_u32_e64 s10, 4, v0
	v_cmp_gt_u32_e64 s11, 2, v0
	v_lshlrev_b32_e32 v12, 2, v7
	v_cndmask_b32_e32 v4, v3, v4, vcc_lo
	v_cmp_gt_i32_e32 vcc_lo, 32, v6
	v_mov_b32_e32 v7, 0
	v_mov_b32_e32 v8, 0
	;; [unrolled: 1-line block ×3, first 2 shown]
	v_lshlrev_b32_e32 v13, 2, v4
	v_cndmask_b32_e32 v6, v3, v6, vcc_lo
	v_mul_f32_e32 v4, 0x4f7ffffe, v5
	v_mov_b32_e32 v3, 0
	s_ashr_i32 s20, s19, 31
	s_sub_i32 s24, 0, s18
	v_lshlrev_b32_e32 v14, 2, v6
	v_cvt_u32_f32_e32 v18, v4
	s_branch .LBB29_7
.LBB29_6:                               ;   in Loop: Header=BB29_7 Depth=1
	s_or_b32 exec_lo, exec_lo, s12
	s_waitcnt lgkmcnt(0)
	s_barrier
	buffer_gl0_inv
	ds_read_b32 v7, v3
	s_waitcnt lgkmcnt(0)
	s_barrier
	buffer_gl0_inv
	v_ashrrev_i32_e32 v8, 31, v7
	v_cmp_gt_i64_e32 vcc_lo, s[16:17], v[7:8]
	s_cbranch_vccz .LBB29_37
.LBB29_7:                               ; =>This Loop Header: Depth=1
                                        ;     Child Loop BB29_10 Depth 2
	v_mov_b32_e32 v5, s16
	v_add_nc_u32_e32 v9, v9, v1
	v_mov_b32_e32 v6, s17
	v_mov_b32_e32 v4, v2
	s_mov_b32 s25, exec_lo
	ds_write_b8 v3, v3 offset:2056
	s_waitcnt lgkmcnt(0)
	s_barrier
	buffer_gl0_inv
	v_cmpx_lt_i32_e64 v9, v2
	s_cbranch_execz .LBB29_19
; %bb.8:                                ;   in Loop: Header=BB29_7 Depth=1
	v_mov_b32_e32 v5, s16
	v_mov_b32_e32 v6, s17
	;; [unrolled: 1-line block ×3, first 2 shown]
	s_mov_b32 s26, 0
	s_branch .LBB29_10
.LBB29_9:                               ;   in Loop: Header=BB29_10 Depth=2
	s_or_b32 exec_lo, exec_lo, s12
	v_add_nc_u32_e32 v9, 8, v9
	s_xor_b32 s21, vcc_lo, -1
	v_mov_b32_e32 v19, v4
	v_cmp_ge_i32_e64 s12, v9, v2
	s_or_b32 s12, s21, s12
	s_and_b32 s12, exec_lo, s12
	s_or_b32 s26, s12, s26
	s_andn2_b32 exec_lo, exec_lo, s26
	s_cbranch_execz .LBB29_18
.LBB29_10:                              ;   Parent Loop BB29_7 Depth=1
                                        ; =>  This Inner Loop Header: Depth=2
	v_ashrrev_i32_e32 v10, 31, v9
	s_mov_b32 s12, exec_lo
	v_lshlrev_b64 v[10:11], 3, v[9:10]
	v_add_co_u32 v10, vcc_lo, s14, v10
	v_add_co_ci_u32_e64 v11, null, s15, v11, vcc_lo
	global_load_dwordx2 v[10:11], v[10:11], off
	s_waitcnt vmcnt(0)
	v_sub_co_u32 v20, vcc_lo, v10, s13
	v_subrev_co_ci_u32_e64 v21, null, 0, v11, vcc_lo
                                        ; implicit-def: $vgpr10_vgpr11
	v_or_b32_e32 v4, s19, v21
	v_cmpx_ne_u64_e32 0, v[3:4]
	s_xor_b32 s27, exec_lo, s12
	s_cbranch_execz .LBB29_12
; %bb.11:                               ;   in Loop: Header=BB29_10 Depth=2
	s_add_u32 s22, s18, s20
	s_mov_b32 s21, s20
	s_addc_u32 s23, s19, s20
	v_ashrrev_i32_e32 v24, 31, v21
	s_xor_b64 s[22:23], s[22:23], s[20:21]
	v_cvt_f32_u32_e32 v4, s22
	v_cvt_f32_u32_e32 v10, s23
	s_sub_u32 s12, 0, s22
	s_subb_u32 s29, 0, s23
	v_add_co_u32 v11, vcc_lo, v20, v24
	v_fmac_f32_e32 v4, 0x4f800000, v10
	v_xor_b32_e32 v25, v11, v24
	v_rcp_f32_e32 v4, v4
	v_mul_f32_e32 v4, 0x5f7ffffc, v4
	v_mul_f32_e32 v10, 0x2f800000, v4
	v_trunc_f32_e32 v10, v10
	v_fmac_f32_e32 v4, 0xcf800000, v10
	v_cvt_u32_f32_e32 v10, v10
	v_cvt_u32_f32_e32 v4, v4
	v_readfirstlane_b32 s21, v10
	v_readfirstlane_b32 s28, v4
	s_mul_i32 s30, s12, s21
	v_add_co_ci_u32_e64 v4, null, v21, v24, vcc_lo
	s_mul_hi_u32 s33, s12, s28
	s_mul_i32 s31, s29, s28
	s_add_i32 s30, s33, s30
	s_mul_i32 s34, s12, s28
	s_add_i32 s30, s30, s31
	s_mul_hi_u32 s33, s28, s34
	s_mul_i32 s36, s28, s30
	s_mul_hi_u32 s35, s21, s34
	s_mul_i32 s31, s21, s34
	s_mul_hi_u32 s34, s28, s30
	s_add_u32 s33, s33, s36
	s_addc_u32 s34, 0, s34
	s_mul_hi_u32 s37, s21, s30
	s_add_u32 s31, s33, s31
	s_mul_i32 s30, s21, s30
	s_addc_u32 s31, s34, s35
	s_addc_u32 s33, s37, 0
	s_add_u32 s30, s31, s30
	s_addc_u32 s31, 0, s33
	s_add_u32 s28, s28, s30
	s_cselect_b32 s30, -1, 0
	s_mul_hi_u32 s33, s12, s28
	s_cmp_lg_u32 s30, 0
	s_mul_i32 s30, s12, s28
	s_addc_u32 s21, s21, s31
	s_mul_i32 s29, s29, s28
	s_mul_i32 s12, s12, s21
	s_mul_hi_u32 s31, s28, s30
	s_add_i32 s12, s33, s12
	s_mul_hi_u32 s33, s21, s30
	s_add_i32 s12, s12, s29
	s_mul_i32 s29, s21, s30
	s_mul_i32 s35, s28, s12
	s_mul_hi_u32 s34, s28, s12
	s_add_u32 s31, s31, s35
	s_addc_u32 s34, 0, s34
	s_mul_hi_u32 s30, s21, s12
	s_add_u32 s29, s31, s29
	s_mul_i32 s12, s21, s12
	s_addc_u32 s29, s34, s33
	s_addc_u32 s30, s30, 0
	s_add_u32 s12, s29, s12
	s_addc_u32 s29, 0, s30
	s_add_u32 s12, s28, s12
	s_cselect_b32 s28, -1, 0
	v_xor_b32_e32 v4, v4, v24
	s_cmp_lg_u32 s28, 0
	v_mul_hi_u32 v26, v25, s12
	s_addc_u32 s21, s21, s29
	v_mad_u64_u32 v[10:11], null, v25, s21, 0
	v_mad_u64_u32 v[20:21], null, v4, s12, 0
	;; [unrolled: 1-line block ×3, first 2 shown]
	v_add_co_u32 v10, vcc_lo, v26, v10
	v_add_co_ci_u32_e64 v11, null, 0, v11, vcc_lo
	v_add_co_u32 v10, vcc_lo, v10, v20
	v_add_co_ci_u32_e32 v10, vcc_lo, v11, v21, vcc_lo
	v_add_co_ci_u32_e32 v11, vcc_lo, 0, v23, vcc_lo
	v_add_co_u32 v20, vcc_lo, v10, v22
	v_add_co_ci_u32_e64 v21, null, 0, v11, vcc_lo
	v_mul_lo_u32 v22, s23, v20
	v_mad_u64_u32 v[10:11], null, s22, v20, 0
	v_mul_lo_u32 v23, s22, v21
	v_sub_co_u32 v10, vcc_lo, v25, v10
	v_add3_u32 v11, v11, v23, v22
	v_add_co_u32 v23, s12, v20, 2
	v_add_co_ci_u32_e64 v25, null, 0, v21, s12
	v_sub_nc_u32_e32 v22, v4, v11
	v_sub_co_u32 v26, s12, v10, s22
	v_sub_co_ci_u32_e64 v4, null, v4, v11, vcc_lo
	v_subrev_co_ci_u32_e64 v22, null, s23, v22, vcc_lo
	v_cmp_le_u32_e32 vcc_lo, s22, v26
	v_subrev_co_ci_u32_e64 v22, null, 0, v22, s12
	v_cndmask_b32_e64 v11, 0, -1, vcc_lo
	v_cmp_le_u32_e32 vcc_lo, s23, v22
	v_cndmask_b32_e64 v26, 0, -1, vcc_lo
	v_cmp_le_u32_e32 vcc_lo, s22, v10
	v_cndmask_b32_e64 v10, 0, -1, vcc_lo
	v_cmp_le_u32_e32 vcc_lo, s23, v4
	v_cndmask_b32_e64 v27, 0, -1, vcc_lo
	v_cmp_eq_u32_e32 vcc_lo, s23, v22
	v_cndmask_b32_e32 v11, v26, v11, vcc_lo
	v_add_co_u32 v22, vcc_lo, v20, 1
	v_add_co_ci_u32_e64 v26, null, 0, v21, vcc_lo
	v_cmp_eq_u32_e32 vcc_lo, s23, v4
	v_cndmask_b32_e32 v4, v27, v10, vcc_lo
	v_cmp_ne_u32_e32 vcc_lo, 0, v11
	v_xor_b32_e32 v11, s20, v24
	v_cmp_ne_u32_e64 s12, 0, v4
	v_cndmask_b32_e32 v4, v22, v23, vcc_lo
	v_cndmask_b32_e32 v10, v26, v25, vcc_lo
	v_cndmask_b32_e64 v4, v20, v4, s12
	v_cndmask_b32_e64 v10, v21, v10, s12
	v_xor_b32_e32 v4, v4, v11
	v_xor_b32_e32 v20, v10, v11
	v_sub_co_u32 v10, vcc_lo, v4, v11
	v_sub_co_ci_u32_e64 v11, null, v20, v11, vcc_lo
                                        ; implicit-def: $vgpr20
.LBB29_12:                              ;   in Loop: Header=BB29_10 Depth=2
	s_andn2_saveexec_b32 s12, s27
	s_cbranch_execz .LBB29_14
; %bb.13:                               ;   in Loop: Header=BB29_10 Depth=2
	v_mul_lo_u32 v4, s24, v18
	v_mul_hi_u32 v4, v18, v4
	v_add_nc_u32_e32 v4, v18, v4
	v_mul_hi_u32 v4, v20, v4
	v_mul_lo_u32 v10, v4, s18
	v_add_nc_u32_e32 v11, 1, v4
	v_sub_nc_u32_e32 v10, v20, v10
	v_subrev_nc_u32_e32 v20, s18, v10
	v_cmp_le_u32_e32 vcc_lo, s18, v10
	v_cndmask_b32_e32 v10, v10, v20, vcc_lo
	v_cndmask_b32_e32 v4, v4, v11, vcc_lo
	v_cmp_le_u32_e32 vcc_lo, s18, v10
	v_add_nc_u32_e32 v11, 1, v4
	v_cndmask_b32_e32 v10, v4, v11, vcc_lo
	v_mov_b32_e32 v11, v3
.LBB29_14:                              ;   in Loop: Header=BB29_10 Depth=2
	s_or_b32 exec_lo, exec_lo, s12
	s_mov_b32 s21, exec_lo
	v_cmp_eq_u64_e32 vcc_lo, v[10:11], v[7:8]
	v_cmpx_ne_u64_e64 v[10:11], v[7:8]
	s_xor_b32 s21, exec_lo, s21
; %bb.15:                               ;   in Loop: Header=BB29_10 Depth=2
	v_cmp_lt_i64_e64 s12, v[10:11], v[5:6]
                                        ; implicit-def: $vgpr19
	v_cndmask_b32_e64 v6, v6, v11, s12
	v_cndmask_b32_e64 v5, v5, v10, s12
; %bb.16:                               ;   in Loop: Header=BB29_10 Depth=2
	s_or_saveexec_b32 s12, s21
	v_mov_b32_e32 v4, v9
	s_xor_b32 exec_lo, exec_lo, s12
	s_cbranch_execz .LBB29_9
; %bb.17:                               ;   in Loop: Header=BB29_10 Depth=2
	v_mov_b32_e32 v4, v19
	ds_write_b8 v3, v17 offset:2056
	s_branch .LBB29_9
.LBB29_18:                              ;   in Loop: Header=BB29_7 Depth=1
	s_or_b32 exec_lo, exec_lo, s26
.LBB29_19:                              ;   in Loop: Header=BB29_7 Depth=1
	s_or_b32 exec_lo, exec_lo, s25
	ds_bpermute_b32 v7, v12, v4
	s_waitcnt lgkmcnt(0)
	s_barrier
	buffer_gl0_inv
	ds_read_u8 v8, v3 offset:2056
	v_min_i32_e32 v4, v7, v4
	s_waitcnt lgkmcnt(0)
	v_readfirstlane_b32 s12, v8
	ds_bpermute_b32 v7, v13, v4
	s_bitcmp1_b32 s12, 0
	s_cselect_b32 s12, -1, 0
	s_and_b32 s21, s0, s12
	s_waitcnt lgkmcnt(0)
	v_min_i32_e32 v4, v7, v4
	ds_bpermute_b32 v7, v14, v4
	s_waitcnt lgkmcnt(0)
	v_min_i32_e32 v4, v7, v4
	ds_bpermute_b32 v9, v15, v4
	s_and_saveexec_b32 s12, s21
	s_cbranch_execz .LBB29_21
; %bb.20:                               ;   in Loop: Header=BB29_7 Depth=1
	ds_read_b64 v[7:8], v3 offset:2048
	s_waitcnt lgkmcnt(0)
	v_add_co_u32 v7, vcc_lo, v7, 1
	v_add_co_ci_u32_e64 v8, null, 0, v8, vcc_lo
	ds_write_b64 v3, v[7:8] offset:2048
.LBB29_21:                              ;   in Loop: Header=BB29_7 Depth=1
	s_or_b32 exec_lo, exec_lo, s12
	ds_write_b64 v16, v[5:6]
	s_waitcnt lgkmcnt(0)
	s_barrier
	buffer_gl0_inv
	s_and_saveexec_b32 s12, s1
	s_cbranch_execz .LBB29_23
; %bb.22:                               ;   in Loop: Header=BB29_7 Depth=1
	ds_read2st64_b64 v[4:7], v16 offset1:2
	s_waitcnt lgkmcnt(0)
	v_cmp_lt_i64_e32 vcc_lo, v[6:7], v[4:5]
	v_cndmask_b32_e32 v5, v5, v7, vcc_lo
	v_cndmask_b32_e32 v4, v4, v6, vcc_lo
	ds_write_b64 v16, v[4:5]
.LBB29_23:                              ;   in Loop: Header=BB29_7 Depth=1
	s_or_b32 exec_lo, exec_lo, s12
	s_waitcnt lgkmcnt(0)
	s_barrier
	buffer_gl0_inv
	s_and_saveexec_b32 s12, s2
	s_cbranch_execz .LBB29_25
; %bb.24:                               ;   in Loop: Header=BB29_7 Depth=1
	ds_read2st64_b64 v[4:7], v16 offset1:1
	s_waitcnt lgkmcnt(0)
	v_cmp_lt_i64_e32 vcc_lo, v[6:7], v[4:5]
	v_cndmask_b32_e32 v5, v5, v7, vcc_lo
	v_cndmask_b32_e32 v4, v4, v6, vcc_lo
	ds_write_b64 v16, v[4:5]
.LBB29_25:                              ;   in Loop: Header=BB29_7 Depth=1
	s_or_b32 exec_lo, exec_lo, s12
	s_waitcnt lgkmcnt(0)
	s_barrier
	buffer_gl0_inv
	s_and_saveexec_b32 s12, s3
	s_cbranch_execz .LBB29_27
; %bb.26:                               ;   in Loop: Header=BB29_7 Depth=1
	ds_read2_b64 v[4:7], v16 offset1:32
	s_waitcnt lgkmcnt(0)
	v_cmp_lt_i64_e32 vcc_lo, v[6:7], v[4:5]
	v_cndmask_b32_e32 v5, v5, v7, vcc_lo
	v_cndmask_b32_e32 v4, v4, v6, vcc_lo
	ds_write_b64 v16, v[4:5]
.LBB29_27:                              ;   in Loop: Header=BB29_7 Depth=1
	s_or_b32 exec_lo, exec_lo, s12
	s_waitcnt lgkmcnt(0)
	s_barrier
	buffer_gl0_inv
	s_and_saveexec_b32 s12, s8
	s_cbranch_execz .LBB29_29
; %bb.28:                               ;   in Loop: Header=BB29_7 Depth=1
	ds_read2_b64 v[4:7], v16 offset1:16
	s_waitcnt lgkmcnt(0)
	v_cmp_lt_i64_e32 vcc_lo, v[6:7], v[4:5]
	v_cndmask_b32_e32 v5, v5, v7, vcc_lo
	v_cndmask_b32_e32 v4, v4, v6, vcc_lo
	ds_write_b64 v16, v[4:5]
.LBB29_29:                              ;   in Loop: Header=BB29_7 Depth=1
	;; [unrolled: 14-line block ×5, first 2 shown]
	s_or_b32 exec_lo, exec_lo, s12
	s_waitcnt lgkmcnt(0)
	s_barrier
	buffer_gl0_inv
	s_and_saveexec_b32 s12, s0
	s_cbranch_execz .LBB29_6
; %bb.36:                               ;   in Loop: Header=BB29_7 Depth=1
	ds_read_b128 v[4:7], v3
	s_waitcnt lgkmcnt(0)
	v_cmp_lt_i64_e32 vcc_lo, v[6:7], v[4:5]
	v_cndmask_b32_e32 v5, v5, v7, vcc_lo
	v_cndmask_b32_e32 v4, v4, v6, vcc_lo
	ds_write_b64 v3, v[4:5]
	s_branch .LBB29_6
.LBB29_37:
	s_mov_b32 s0, exec_lo
	v_cmpx_eq_u32_e32 0, v0
	s_cbranch_execz .LBB29_39
; %bb.38:
	s_clause 0x1
	s_load_dword s2, s[4:5], 0x40
	s_load_dwordx2 s[0:1], s[4:5], 0x48
	v_mov_b32_e32 v0, 0
	ds_read_b32 v1, v0 offset:2048
	s_waitcnt lgkmcnt(0)
	v_mov_b32_e32 v2, s2
	s_lshl_b64 s[2:3], s[6:7], 2
	s_add_u32 s2, s0, s2
	s_addc_u32 s3, s1, s3
	global_store_dword v0, v2, s[0:1]
	global_store_dword v0, v1, s[2:3] offset:4
.LBB29_39:
	s_endpgm
	.section	.rodata,"a",@progbits
	.p2align	6, 0x0
	.amdhsa_kernel _ZN9rocsparseL42csr2bsr_nnz_block_per_row_multipass_kernelILj256ELj32EilEEvT2_S1_S1_S1_S1_21rocsparse_index_base_PKT1_PKS1_S2_PS3_
		.amdhsa_group_segment_fixed_size 2064
		.amdhsa_private_segment_fixed_size 0
		.amdhsa_kernarg_size 80
		.amdhsa_user_sgpr_count 6
		.amdhsa_user_sgpr_private_segment_buffer 1
		.amdhsa_user_sgpr_dispatch_ptr 0
		.amdhsa_user_sgpr_queue_ptr 0
		.amdhsa_user_sgpr_kernarg_segment_ptr 1
		.amdhsa_user_sgpr_dispatch_id 0
		.amdhsa_user_sgpr_flat_scratch_init 0
		.amdhsa_user_sgpr_private_segment_size 0
		.amdhsa_wavefront_size32 1
		.amdhsa_uses_dynamic_stack 0
		.amdhsa_system_sgpr_private_segment_wavefront_offset 0
		.amdhsa_system_sgpr_workgroup_id_x 1
		.amdhsa_system_sgpr_workgroup_id_y 0
		.amdhsa_system_sgpr_workgroup_id_z 0
		.amdhsa_system_sgpr_workgroup_info 0
		.amdhsa_system_vgpr_workitem_id 0
		.amdhsa_next_free_vgpr 28
		.amdhsa_next_free_sgpr 38
		.amdhsa_reserve_vcc 1
		.amdhsa_reserve_flat_scratch 0
		.amdhsa_float_round_mode_32 0
		.amdhsa_float_round_mode_16_64 0
		.amdhsa_float_denorm_mode_32 3
		.amdhsa_float_denorm_mode_16_64 3
		.amdhsa_dx10_clamp 1
		.amdhsa_ieee_mode 1
		.amdhsa_fp16_overflow 0
		.amdhsa_workgroup_processor_mode 1
		.amdhsa_memory_ordered 1
		.amdhsa_forward_progress 1
		.amdhsa_shared_vgpr_count 0
		.amdhsa_exception_fp_ieee_invalid_op 0
		.amdhsa_exception_fp_denorm_src 0
		.amdhsa_exception_fp_ieee_div_zero 0
		.amdhsa_exception_fp_ieee_overflow 0
		.amdhsa_exception_fp_ieee_underflow 0
		.amdhsa_exception_fp_ieee_inexact 0
		.amdhsa_exception_int_div_zero 0
	.end_amdhsa_kernel
	.section	.text._ZN9rocsparseL42csr2bsr_nnz_block_per_row_multipass_kernelILj256ELj32EilEEvT2_S1_S1_S1_S1_21rocsparse_index_base_PKT1_PKS1_S2_PS3_,"axG",@progbits,_ZN9rocsparseL42csr2bsr_nnz_block_per_row_multipass_kernelILj256ELj32EilEEvT2_S1_S1_S1_S1_21rocsparse_index_base_PKT1_PKS1_S2_PS3_,comdat
.Lfunc_end29:
	.size	_ZN9rocsparseL42csr2bsr_nnz_block_per_row_multipass_kernelILj256ELj32EilEEvT2_S1_S1_S1_S1_21rocsparse_index_base_PKT1_PKS1_S2_PS3_, .Lfunc_end29-_ZN9rocsparseL42csr2bsr_nnz_block_per_row_multipass_kernelILj256ELj32EilEEvT2_S1_S1_S1_S1_21rocsparse_index_base_PKT1_PKS1_S2_PS3_
                                        ; -- End function
	.set _ZN9rocsparseL42csr2bsr_nnz_block_per_row_multipass_kernelILj256ELj32EilEEvT2_S1_S1_S1_S1_21rocsparse_index_base_PKT1_PKS1_S2_PS3_.num_vgpr, 28
	.set _ZN9rocsparseL42csr2bsr_nnz_block_per_row_multipass_kernelILj256ELj32EilEEvT2_S1_S1_S1_S1_21rocsparse_index_base_PKT1_PKS1_S2_PS3_.num_agpr, 0
	.set _ZN9rocsparseL42csr2bsr_nnz_block_per_row_multipass_kernelILj256ELj32EilEEvT2_S1_S1_S1_S1_21rocsparse_index_base_PKT1_PKS1_S2_PS3_.numbered_sgpr, 38
	.set _ZN9rocsparseL42csr2bsr_nnz_block_per_row_multipass_kernelILj256ELj32EilEEvT2_S1_S1_S1_S1_21rocsparse_index_base_PKT1_PKS1_S2_PS3_.num_named_barrier, 0
	.set _ZN9rocsparseL42csr2bsr_nnz_block_per_row_multipass_kernelILj256ELj32EilEEvT2_S1_S1_S1_S1_21rocsparse_index_base_PKT1_PKS1_S2_PS3_.private_seg_size, 0
	.set _ZN9rocsparseL42csr2bsr_nnz_block_per_row_multipass_kernelILj256ELj32EilEEvT2_S1_S1_S1_S1_21rocsparse_index_base_PKT1_PKS1_S2_PS3_.uses_vcc, 1
	.set _ZN9rocsparseL42csr2bsr_nnz_block_per_row_multipass_kernelILj256ELj32EilEEvT2_S1_S1_S1_S1_21rocsparse_index_base_PKT1_PKS1_S2_PS3_.uses_flat_scratch, 0
	.set _ZN9rocsparseL42csr2bsr_nnz_block_per_row_multipass_kernelILj256ELj32EilEEvT2_S1_S1_S1_S1_21rocsparse_index_base_PKT1_PKS1_S2_PS3_.has_dyn_sized_stack, 0
	.set _ZN9rocsparseL42csr2bsr_nnz_block_per_row_multipass_kernelILj256ELj32EilEEvT2_S1_S1_S1_S1_21rocsparse_index_base_PKT1_PKS1_S2_PS3_.has_recursion, 0
	.set _ZN9rocsparseL42csr2bsr_nnz_block_per_row_multipass_kernelILj256ELj32EilEEvT2_S1_S1_S1_S1_21rocsparse_index_base_PKT1_PKS1_S2_PS3_.has_indirect_call, 0
	.section	.AMDGPU.csdata,"",@progbits
; Kernel info:
; codeLenInByte = 2208
; TotalNumSgprs: 40
; NumVgprs: 28
; ScratchSize: 0
; MemoryBound: 0
; FloatMode: 240
; IeeeMode: 1
; LDSByteSize: 2064 bytes/workgroup (compile time only)
; SGPRBlocks: 0
; VGPRBlocks: 3
; NumSGPRsForWavesPerEU: 40
; NumVGPRsForWavesPerEU: 28
; Occupancy: 16
; WaveLimiterHint : 0
; COMPUTE_PGM_RSRC2:SCRATCH_EN: 0
; COMPUTE_PGM_RSRC2:USER_SGPR: 6
; COMPUTE_PGM_RSRC2:TRAP_HANDLER: 0
; COMPUTE_PGM_RSRC2:TGID_X_EN: 1
; COMPUTE_PGM_RSRC2:TGID_Y_EN: 0
; COMPUTE_PGM_RSRC2:TGID_Z_EN: 0
; COMPUTE_PGM_RSRC2:TIDIG_COMP_CNT: 0
	.section	.text._ZN9rocsparseL42csr2bsr_nnz_block_per_row_multipass_kernelILj256ELj64EilEEvT2_S1_S1_S1_S1_21rocsparse_index_base_PKT1_PKS1_S2_PS3_,"axG",@progbits,_ZN9rocsparseL42csr2bsr_nnz_block_per_row_multipass_kernelILj256ELj64EilEEvT2_S1_S1_S1_S1_21rocsparse_index_base_PKT1_PKS1_S2_PS3_,comdat
	.globl	_ZN9rocsparseL42csr2bsr_nnz_block_per_row_multipass_kernelILj256ELj64EilEEvT2_S1_S1_S1_S1_21rocsparse_index_base_PKT1_PKS1_S2_PS3_ ; -- Begin function _ZN9rocsparseL42csr2bsr_nnz_block_per_row_multipass_kernelILj256ELj64EilEEvT2_S1_S1_S1_S1_21rocsparse_index_base_PKT1_PKS1_S2_PS3_
	.p2align	8
	.type	_ZN9rocsparseL42csr2bsr_nnz_block_per_row_multipass_kernelILj256ELj64EilEEvT2_S1_S1_S1_S1_21rocsparse_index_base_PKT1_PKS1_S2_PS3_,@function
_ZN9rocsparseL42csr2bsr_nnz_block_per_row_multipass_kernelILj256ELj64EilEEvT2_S1_S1_S1_S1_21rocsparse_index_base_PKT1_PKS1_S2_PS3_: ; @_ZN9rocsparseL42csr2bsr_nnz_block_per_row_multipass_kernelILj256ELj64EilEEvT2_S1_S1_S1_S1_21rocsparse_index_base_PKT1_PKS1_S2_PS3_
; %bb.0:
	s_clause 0x1
	s_load_dwordx4 s[16:19], s[4:5], 0x18
	s_load_dwordx2 s[0:1], s[4:5], 0x0
	v_mov_b32_e32 v2, 0
	v_lshrrev_b32_e32 v1, 2, v0
	s_clause 0x1
	s_load_dword s13, s[4:5], 0x28
	s_load_dwordx2 s[2:3], s[4:5], 0x30
	s_ashr_i32 s7, s6, 31
	v_mov_b32_e32 v9, 0
	v_mov_b32_e32 v5, v2
	;; [unrolled: 1-line block ×3, first 2 shown]
	ds_write_b64 v2, v[5:6] offset:2048
	s_waitcnt lgkmcnt(0)
	s_barrier
	buffer_gl0_inv
	v_mad_u64_u32 v[3:4], null, s18, s6, v[1:2]
	s_mul_i32 s8, s19, s6
	s_mul_i32 s9, s18, s7
	v_add3_u32 v4, s9, s8, v4
	v_cmp_gt_i64_e32 vcc_lo, s[0:1], v[3:4]
	v_cmp_gt_i64_e64 s0, s[18:19], v[1:2]
	s_and_b32 s0, s0, vcc_lo
	s_and_saveexec_b32 s1, s0
	s_cbranch_execz .LBB30_2
; %bb.1:
	v_lshlrev_b64 v[5:6], 2, v[3:4]
	v_add_co_u32 v5, vcc_lo, s2, v5
	v_add_co_ci_u32_e64 v6, null, s3, v6, vcc_lo
	global_load_dword v1, v[5:6], off
	s_waitcnt vmcnt(0)
	v_subrev_nc_u32_e32 v9, s13, v1
.LBB30_2:
	s_or_b32 exec_lo, exec_lo, s1
	s_and_saveexec_b32 s1, s0
	s_cbranch_execz .LBB30_4
; %bb.3:
	v_lshlrev_b64 v[1:2], 2, v[3:4]
	v_add_co_u32 v1, vcc_lo, s2, v1
	v_add_co_ci_u32_e64 v2, null, s3, v2, vcc_lo
	global_load_dword v1, v[1:2], off offset:4
	s_waitcnt vmcnt(0)
	v_subrev_nc_u32_e32 v2, s13, v1
.LBB30_4:
	s_or_b32 exec_lo, exec_lo, s1
	v_cmp_lt_i64_e64 s0, s[16:17], 1
	s_and_b32 vcc_lo, exec_lo, s0
	v_cmp_eq_u32_e64 s0, 0, v0
	s_cbranch_vccnz .LBB30_37
; %bb.5:
	v_cvt_f32_u32_e32 v1, s18
	v_mbcnt_lo_u32_b32 v3, -1, 0
	s_sub_i32 s1, 0, s18
	s_load_dwordx2 s[14:15], s[4:5], 0x38
	v_lshlrev_b32_e32 v15, 3, v0
	v_rcp_iflag_f32_e32 v1, v1
	v_xor_b32_e32 v4, 2, v3
	v_xor_b32_e32 v5, 1, v3
	v_lshl_or_b32 v14, v3, 2, 12
	v_cmp_gt_u32_e64 s2, 64, v0
	v_cmp_gt_u32_e64 s3, 32, v0
	v_cmp_gt_i32_e32 vcc_lo, 32, v4
	v_cmp_gt_u32_e64 s8, 16, v0
	v_cmp_gt_u32_e64 s9, 8, v0
	;; [unrolled: 1-line block ×3, first 2 shown]
	v_mul_f32_e32 v1, 0x4f7ffffe, v1
	v_cndmask_b32_e32 v4, v3, v4, vcc_lo
	v_cmp_gt_i32_e32 vcc_lo, 32, v5
	v_cmp_gt_u32_e64 s11, 2, v0
	v_mov_b32_e32 v16, 1
	v_cvt_u32_f32_e32 v6, v1
	v_lshlrev_b32_e32 v12, 2, v4
	v_cndmask_b32_e32 v5, v3, v5, vcc_lo
	v_and_b32_e32 v1, 3, v0
	v_mov_b32_e32 v3, 0
	v_mul_lo_u32 v7, s1, v6
	v_cmp_gt_u32_e64 s1, 0x80, v0
	v_lshlrev_b32_e32 v13, 2, v5
	s_ashr_i32 s20, s19, 31
	v_mul_hi_u32 v4, v6, v7
	v_mov_b32_e32 v7, 0
	v_mov_b32_e32 v8, 0
	v_add_nc_u32_e32 v17, v6, v4
	s_branch .LBB30_7
.LBB30_6:                               ;   in Loop: Header=BB30_7 Depth=1
	s_or_b32 exec_lo, exec_lo, s12
	s_waitcnt lgkmcnt(0)
	s_barrier
	buffer_gl0_inv
	ds_read_b32 v7, v3
	s_waitcnt lgkmcnt(0)
	s_barrier
	buffer_gl0_inv
	v_ashrrev_i32_e32 v8, 31, v7
	v_cmp_gt_i64_e32 vcc_lo, s[16:17], v[7:8]
	s_cbranch_vccz .LBB30_37
.LBB30_7:                               ; =>This Loop Header: Depth=1
                                        ;     Child Loop BB30_10 Depth 2
	v_mov_b32_e32 v5, s16
	v_add_nc_u32_e32 v9, v9, v1
	v_mov_b32_e32 v6, s17
	v_mov_b32_e32 v4, v2
	s_mov_b32 s24, exec_lo
	ds_write_b8 v3, v3 offset:2056
	s_waitcnt lgkmcnt(0)
	s_barrier
	buffer_gl0_inv
	v_cmpx_lt_i32_e64 v9, v2
	s_cbranch_execz .LBB30_19
; %bb.8:                                ;   in Loop: Header=BB30_7 Depth=1
	v_mov_b32_e32 v5, s16
	v_mov_b32_e32 v6, s17
	;; [unrolled: 1-line block ×3, first 2 shown]
	s_mov_b32 s25, 0
	s_branch .LBB30_10
.LBB30_9:                               ;   in Loop: Header=BB30_10 Depth=2
	s_or_b32 exec_lo, exec_lo, s12
	v_add_nc_u32_e32 v9, 4, v9
	s_xor_b32 s21, vcc_lo, -1
	v_mov_b32_e32 v18, v4
	v_cmp_ge_i32_e64 s12, v9, v2
	s_or_b32 s12, s21, s12
	s_and_b32 s12, exec_lo, s12
	s_or_b32 s25, s12, s25
	s_andn2_b32 exec_lo, exec_lo, s25
	s_cbranch_execz .LBB30_18
.LBB30_10:                              ;   Parent Loop BB30_7 Depth=1
                                        ; =>  This Inner Loop Header: Depth=2
	v_ashrrev_i32_e32 v10, 31, v9
	s_mov_b32 s12, exec_lo
	v_lshlrev_b64 v[10:11], 3, v[9:10]
	v_add_co_u32 v10, vcc_lo, s14, v10
	v_add_co_ci_u32_e64 v11, null, s15, v11, vcc_lo
	global_load_dwordx2 v[10:11], v[10:11], off
	s_waitcnt vmcnt(0)
	v_sub_co_u32 v19, vcc_lo, v10, s13
	v_subrev_co_ci_u32_e64 v20, null, 0, v11, vcc_lo
                                        ; implicit-def: $vgpr10_vgpr11
	v_or_b32_e32 v4, s19, v20
	v_cmpx_ne_u64_e32 0, v[3:4]
	s_xor_b32 s26, exec_lo, s12
	s_cbranch_execz .LBB30_12
; %bb.11:                               ;   in Loop: Header=BB30_10 Depth=2
	s_add_u32 s22, s18, s20
	s_mov_b32 s21, s20
	s_addc_u32 s23, s19, s20
	v_ashrrev_i32_e32 v23, 31, v20
	s_xor_b64 s[22:23], s[22:23], s[20:21]
	v_cvt_f32_u32_e32 v4, s22
	v_cvt_f32_u32_e32 v10, s23
	s_sub_u32 s12, 0, s22
	s_subb_u32 s28, 0, s23
	v_add_co_u32 v11, vcc_lo, v19, v23
	v_fmac_f32_e32 v4, 0x4f800000, v10
	v_xor_b32_e32 v24, v11, v23
	v_rcp_f32_e32 v4, v4
	v_mul_f32_e32 v4, 0x5f7ffffc, v4
	v_mul_f32_e32 v10, 0x2f800000, v4
	v_trunc_f32_e32 v10, v10
	v_fmac_f32_e32 v4, 0xcf800000, v10
	v_cvt_u32_f32_e32 v10, v10
	v_cvt_u32_f32_e32 v4, v4
	v_readfirstlane_b32 s21, v10
	v_readfirstlane_b32 s27, v4
	s_mul_i32 s29, s12, s21
	v_add_co_ci_u32_e64 v4, null, v20, v23, vcc_lo
	s_mul_hi_u32 s31, s12, s27
	s_mul_i32 s30, s28, s27
	s_add_i32 s29, s31, s29
	s_mul_i32 s33, s12, s27
	s_add_i32 s29, s29, s30
	s_mul_hi_u32 s31, s27, s33
	s_mul_i32 s35, s27, s29
	s_mul_hi_u32 s34, s21, s33
	s_mul_i32 s30, s21, s33
	s_mul_hi_u32 s33, s27, s29
	s_add_u32 s31, s31, s35
	s_addc_u32 s33, 0, s33
	s_mul_hi_u32 s36, s21, s29
	s_add_u32 s30, s31, s30
	s_mul_i32 s29, s21, s29
	s_addc_u32 s30, s33, s34
	s_addc_u32 s31, s36, 0
	s_add_u32 s29, s30, s29
	s_addc_u32 s30, 0, s31
	s_add_u32 s27, s27, s29
	s_cselect_b32 s29, -1, 0
	s_mul_hi_u32 s31, s12, s27
	s_cmp_lg_u32 s29, 0
	s_mul_i32 s29, s12, s27
	s_addc_u32 s21, s21, s30
	s_mul_i32 s28, s28, s27
	s_mul_i32 s12, s12, s21
	s_mul_hi_u32 s30, s27, s29
	s_add_i32 s12, s31, s12
	s_mul_hi_u32 s31, s21, s29
	s_add_i32 s12, s12, s28
	s_mul_i32 s28, s21, s29
	s_mul_i32 s34, s27, s12
	s_mul_hi_u32 s33, s27, s12
	s_add_u32 s30, s30, s34
	s_addc_u32 s33, 0, s33
	s_mul_hi_u32 s29, s21, s12
	s_add_u32 s28, s30, s28
	s_mul_i32 s12, s21, s12
	s_addc_u32 s28, s33, s31
	s_addc_u32 s29, s29, 0
	s_add_u32 s12, s28, s12
	s_addc_u32 s28, 0, s29
	s_add_u32 s12, s27, s12
	s_cselect_b32 s27, -1, 0
	v_xor_b32_e32 v4, v4, v23
	s_cmp_lg_u32 s27, 0
	v_mul_hi_u32 v25, v24, s12
	s_addc_u32 s21, s21, s28
	v_mad_u64_u32 v[10:11], null, v24, s21, 0
	v_mad_u64_u32 v[19:20], null, v4, s12, 0
	;; [unrolled: 1-line block ×3, first 2 shown]
	v_add_co_u32 v10, vcc_lo, v25, v10
	v_add_co_ci_u32_e64 v11, null, 0, v11, vcc_lo
	v_add_co_u32 v10, vcc_lo, v10, v19
	v_add_co_ci_u32_e32 v10, vcc_lo, v11, v20, vcc_lo
	v_add_co_ci_u32_e32 v11, vcc_lo, 0, v22, vcc_lo
	v_add_co_u32 v19, vcc_lo, v10, v21
	v_add_co_ci_u32_e64 v20, null, 0, v11, vcc_lo
	v_mul_lo_u32 v21, s23, v19
	v_mad_u64_u32 v[10:11], null, s22, v19, 0
	v_mul_lo_u32 v22, s22, v20
	v_sub_co_u32 v10, vcc_lo, v24, v10
	v_add3_u32 v11, v11, v22, v21
	v_add_co_u32 v22, s12, v19, 2
	v_add_co_ci_u32_e64 v24, null, 0, v20, s12
	v_sub_nc_u32_e32 v21, v4, v11
	v_sub_co_u32 v25, s12, v10, s22
	v_sub_co_ci_u32_e64 v4, null, v4, v11, vcc_lo
	v_subrev_co_ci_u32_e64 v21, null, s23, v21, vcc_lo
	v_cmp_le_u32_e32 vcc_lo, s22, v25
	v_subrev_co_ci_u32_e64 v21, null, 0, v21, s12
	v_cndmask_b32_e64 v11, 0, -1, vcc_lo
	v_cmp_le_u32_e32 vcc_lo, s23, v21
	v_cndmask_b32_e64 v25, 0, -1, vcc_lo
	v_cmp_le_u32_e32 vcc_lo, s22, v10
	;; [unrolled: 2-line block ×3, first 2 shown]
	v_cndmask_b32_e64 v26, 0, -1, vcc_lo
	v_cmp_eq_u32_e32 vcc_lo, s23, v21
	v_cndmask_b32_e32 v11, v25, v11, vcc_lo
	v_add_co_u32 v21, vcc_lo, v19, 1
	v_add_co_ci_u32_e64 v25, null, 0, v20, vcc_lo
	v_cmp_eq_u32_e32 vcc_lo, s23, v4
	v_cndmask_b32_e32 v4, v26, v10, vcc_lo
	v_cmp_ne_u32_e32 vcc_lo, 0, v11
	v_xor_b32_e32 v11, s20, v23
	v_cmp_ne_u32_e64 s12, 0, v4
	v_cndmask_b32_e32 v4, v21, v22, vcc_lo
	v_cndmask_b32_e32 v10, v25, v24, vcc_lo
	v_cndmask_b32_e64 v4, v19, v4, s12
	v_cndmask_b32_e64 v10, v20, v10, s12
	v_xor_b32_e32 v4, v4, v11
	v_xor_b32_e32 v19, v10, v11
	v_sub_co_u32 v10, vcc_lo, v4, v11
	v_sub_co_ci_u32_e64 v11, null, v19, v11, vcc_lo
                                        ; implicit-def: $vgpr19
.LBB30_12:                              ;   in Loop: Header=BB30_10 Depth=2
	s_andn2_saveexec_b32 s12, s26
	s_cbranch_execz .LBB30_14
; %bb.13:                               ;   in Loop: Header=BB30_10 Depth=2
	v_mul_hi_u32 v4, v19, v17
	v_mul_lo_u32 v10, v4, s18
	v_add_nc_u32_e32 v11, 1, v4
	v_sub_nc_u32_e32 v10, v19, v10
	v_subrev_nc_u32_e32 v19, s18, v10
	v_cmp_le_u32_e32 vcc_lo, s18, v10
	v_cndmask_b32_e32 v10, v10, v19, vcc_lo
	v_cndmask_b32_e32 v4, v4, v11, vcc_lo
	v_cmp_le_u32_e32 vcc_lo, s18, v10
	v_add_nc_u32_e32 v11, 1, v4
	v_cndmask_b32_e32 v10, v4, v11, vcc_lo
	v_mov_b32_e32 v11, v3
.LBB30_14:                              ;   in Loop: Header=BB30_10 Depth=2
	s_or_b32 exec_lo, exec_lo, s12
	s_mov_b32 s21, exec_lo
	v_cmp_eq_u64_e32 vcc_lo, v[10:11], v[7:8]
	v_cmpx_ne_u64_e64 v[10:11], v[7:8]
	s_xor_b32 s21, exec_lo, s21
; %bb.15:                               ;   in Loop: Header=BB30_10 Depth=2
	v_cmp_lt_i64_e64 s12, v[10:11], v[5:6]
                                        ; implicit-def: $vgpr18
	v_cndmask_b32_e64 v6, v6, v11, s12
	v_cndmask_b32_e64 v5, v5, v10, s12
; %bb.16:                               ;   in Loop: Header=BB30_10 Depth=2
	s_or_saveexec_b32 s12, s21
	v_mov_b32_e32 v4, v9
	s_xor_b32 exec_lo, exec_lo, s12
	s_cbranch_execz .LBB30_9
; %bb.17:                               ;   in Loop: Header=BB30_10 Depth=2
	v_mov_b32_e32 v4, v18
	ds_write_b8 v3, v16 offset:2056
	s_branch .LBB30_9
.LBB30_18:                              ;   in Loop: Header=BB30_7 Depth=1
	s_or_b32 exec_lo, exec_lo, s25
.LBB30_19:                              ;   in Loop: Header=BB30_7 Depth=1
	s_or_b32 exec_lo, exec_lo, s24
	ds_bpermute_b32 v7, v12, v4
	s_waitcnt lgkmcnt(0)
	s_barrier
	buffer_gl0_inv
	ds_read_u8 v8, v3 offset:2056
	v_min_i32_e32 v4, v7, v4
	s_waitcnt lgkmcnt(0)
	v_readfirstlane_b32 s12, v8
	ds_bpermute_b32 v7, v13, v4
	s_bitcmp1_b32 s12, 0
	s_cselect_b32 s12, -1, 0
	s_and_b32 s21, s0, s12
	s_waitcnt lgkmcnt(0)
	v_min_i32_e32 v4, v7, v4
	ds_bpermute_b32 v9, v14, v4
	s_and_saveexec_b32 s12, s21
	s_cbranch_execz .LBB30_21
; %bb.20:                               ;   in Loop: Header=BB30_7 Depth=1
	ds_read_b64 v[7:8], v3 offset:2048
	s_waitcnt lgkmcnt(0)
	v_add_co_u32 v7, vcc_lo, v7, 1
	v_add_co_ci_u32_e64 v8, null, 0, v8, vcc_lo
	ds_write_b64 v3, v[7:8] offset:2048
.LBB30_21:                              ;   in Loop: Header=BB30_7 Depth=1
	s_or_b32 exec_lo, exec_lo, s12
	ds_write_b64 v15, v[5:6]
	s_waitcnt lgkmcnt(0)
	s_barrier
	buffer_gl0_inv
	s_and_saveexec_b32 s12, s1
	s_cbranch_execz .LBB30_23
; %bb.22:                               ;   in Loop: Header=BB30_7 Depth=1
	ds_read2st64_b64 v[4:7], v15 offset1:2
	s_waitcnt lgkmcnt(0)
	v_cmp_lt_i64_e32 vcc_lo, v[6:7], v[4:5]
	v_cndmask_b32_e32 v5, v5, v7, vcc_lo
	v_cndmask_b32_e32 v4, v4, v6, vcc_lo
	ds_write_b64 v15, v[4:5]
.LBB30_23:                              ;   in Loop: Header=BB30_7 Depth=1
	s_or_b32 exec_lo, exec_lo, s12
	s_waitcnt lgkmcnt(0)
	s_barrier
	buffer_gl0_inv
	s_and_saveexec_b32 s12, s2
	s_cbranch_execz .LBB30_25
; %bb.24:                               ;   in Loop: Header=BB30_7 Depth=1
	ds_read2st64_b64 v[4:7], v15 offset1:1
	s_waitcnt lgkmcnt(0)
	v_cmp_lt_i64_e32 vcc_lo, v[6:7], v[4:5]
	v_cndmask_b32_e32 v5, v5, v7, vcc_lo
	v_cndmask_b32_e32 v4, v4, v6, vcc_lo
	ds_write_b64 v15, v[4:5]
.LBB30_25:                              ;   in Loop: Header=BB30_7 Depth=1
	s_or_b32 exec_lo, exec_lo, s12
	s_waitcnt lgkmcnt(0)
	s_barrier
	buffer_gl0_inv
	s_and_saveexec_b32 s12, s3
	s_cbranch_execz .LBB30_27
; %bb.26:                               ;   in Loop: Header=BB30_7 Depth=1
	ds_read2_b64 v[4:7], v15 offset1:32
	s_waitcnt lgkmcnt(0)
	v_cmp_lt_i64_e32 vcc_lo, v[6:7], v[4:5]
	v_cndmask_b32_e32 v5, v5, v7, vcc_lo
	v_cndmask_b32_e32 v4, v4, v6, vcc_lo
	ds_write_b64 v15, v[4:5]
.LBB30_27:                              ;   in Loop: Header=BB30_7 Depth=1
	s_or_b32 exec_lo, exec_lo, s12
	s_waitcnt lgkmcnt(0)
	s_barrier
	buffer_gl0_inv
	s_and_saveexec_b32 s12, s8
	s_cbranch_execz .LBB30_29
; %bb.28:                               ;   in Loop: Header=BB30_7 Depth=1
	ds_read2_b64 v[4:7], v15 offset1:16
	s_waitcnt lgkmcnt(0)
	v_cmp_lt_i64_e32 vcc_lo, v[6:7], v[4:5]
	v_cndmask_b32_e32 v5, v5, v7, vcc_lo
	v_cndmask_b32_e32 v4, v4, v6, vcc_lo
	ds_write_b64 v15, v[4:5]
.LBB30_29:                              ;   in Loop: Header=BB30_7 Depth=1
	;; [unrolled: 14-line block ×5, first 2 shown]
	s_or_b32 exec_lo, exec_lo, s12
	s_waitcnt lgkmcnt(0)
	s_barrier
	buffer_gl0_inv
	s_and_saveexec_b32 s12, s0
	s_cbranch_execz .LBB30_6
; %bb.36:                               ;   in Loop: Header=BB30_7 Depth=1
	ds_read_b128 v[4:7], v3
	s_waitcnt lgkmcnt(0)
	v_cmp_lt_i64_e32 vcc_lo, v[6:7], v[4:5]
	v_cndmask_b32_e32 v5, v5, v7, vcc_lo
	v_cndmask_b32_e32 v4, v4, v6, vcc_lo
	ds_write_b64 v3, v[4:5]
	s_branch .LBB30_6
.LBB30_37:
	s_mov_b32 s0, exec_lo
	v_cmpx_eq_u32_e32 0, v0
	s_cbranch_execz .LBB30_39
; %bb.38:
	s_clause 0x1
	s_load_dword s2, s[4:5], 0x40
	s_load_dwordx2 s[0:1], s[4:5], 0x48
	v_mov_b32_e32 v0, 0
	ds_read_b32 v1, v0 offset:2048
	s_waitcnt lgkmcnt(0)
	v_mov_b32_e32 v2, s2
	s_lshl_b64 s[2:3], s[6:7], 2
	s_add_u32 s2, s0, s2
	s_addc_u32 s3, s1, s3
	global_store_dword v0, v2, s[0:1]
	global_store_dword v0, v1, s[2:3] offset:4
.LBB30_39:
	s_endpgm
	.section	.rodata,"a",@progbits
	.p2align	6, 0x0
	.amdhsa_kernel _ZN9rocsparseL42csr2bsr_nnz_block_per_row_multipass_kernelILj256ELj64EilEEvT2_S1_S1_S1_S1_21rocsparse_index_base_PKT1_PKS1_S2_PS3_
		.amdhsa_group_segment_fixed_size 2064
		.amdhsa_private_segment_fixed_size 0
		.amdhsa_kernarg_size 80
		.amdhsa_user_sgpr_count 6
		.amdhsa_user_sgpr_private_segment_buffer 1
		.amdhsa_user_sgpr_dispatch_ptr 0
		.amdhsa_user_sgpr_queue_ptr 0
		.amdhsa_user_sgpr_kernarg_segment_ptr 1
		.amdhsa_user_sgpr_dispatch_id 0
		.amdhsa_user_sgpr_flat_scratch_init 0
		.amdhsa_user_sgpr_private_segment_size 0
		.amdhsa_wavefront_size32 1
		.amdhsa_uses_dynamic_stack 0
		.amdhsa_system_sgpr_private_segment_wavefront_offset 0
		.amdhsa_system_sgpr_workgroup_id_x 1
		.amdhsa_system_sgpr_workgroup_id_y 0
		.amdhsa_system_sgpr_workgroup_id_z 0
		.amdhsa_system_sgpr_workgroup_info 0
		.amdhsa_system_vgpr_workitem_id 0
		.amdhsa_next_free_vgpr 27
		.amdhsa_next_free_sgpr 37
		.amdhsa_reserve_vcc 1
		.amdhsa_reserve_flat_scratch 0
		.amdhsa_float_round_mode_32 0
		.amdhsa_float_round_mode_16_64 0
		.amdhsa_float_denorm_mode_32 3
		.amdhsa_float_denorm_mode_16_64 3
		.amdhsa_dx10_clamp 1
		.amdhsa_ieee_mode 1
		.amdhsa_fp16_overflow 0
		.amdhsa_workgroup_processor_mode 1
		.amdhsa_memory_ordered 1
		.amdhsa_forward_progress 1
		.amdhsa_shared_vgpr_count 0
		.amdhsa_exception_fp_ieee_invalid_op 0
		.amdhsa_exception_fp_denorm_src 0
		.amdhsa_exception_fp_ieee_div_zero 0
		.amdhsa_exception_fp_ieee_overflow 0
		.amdhsa_exception_fp_ieee_underflow 0
		.amdhsa_exception_fp_ieee_inexact 0
		.amdhsa_exception_int_div_zero 0
	.end_amdhsa_kernel
	.section	.text._ZN9rocsparseL42csr2bsr_nnz_block_per_row_multipass_kernelILj256ELj64EilEEvT2_S1_S1_S1_S1_21rocsparse_index_base_PKT1_PKS1_S2_PS3_,"axG",@progbits,_ZN9rocsparseL42csr2bsr_nnz_block_per_row_multipass_kernelILj256ELj64EilEEvT2_S1_S1_S1_S1_21rocsparse_index_base_PKT1_PKS1_S2_PS3_,comdat
.Lfunc_end30:
	.size	_ZN9rocsparseL42csr2bsr_nnz_block_per_row_multipass_kernelILj256ELj64EilEEvT2_S1_S1_S1_S1_21rocsparse_index_base_PKT1_PKS1_S2_PS3_, .Lfunc_end30-_ZN9rocsparseL42csr2bsr_nnz_block_per_row_multipass_kernelILj256ELj64EilEEvT2_S1_S1_S1_S1_21rocsparse_index_base_PKT1_PKS1_S2_PS3_
                                        ; -- End function
	.set _ZN9rocsparseL42csr2bsr_nnz_block_per_row_multipass_kernelILj256ELj64EilEEvT2_S1_S1_S1_S1_21rocsparse_index_base_PKT1_PKS1_S2_PS3_.num_vgpr, 27
	.set _ZN9rocsparseL42csr2bsr_nnz_block_per_row_multipass_kernelILj256ELj64EilEEvT2_S1_S1_S1_S1_21rocsparse_index_base_PKT1_PKS1_S2_PS3_.num_agpr, 0
	.set _ZN9rocsparseL42csr2bsr_nnz_block_per_row_multipass_kernelILj256ELj64EilEEvT2_S1_S1_S1_S1_21rocsparse_index_base_PKT1_PKS1_S2_PS3_.numbered_sgpr, 37
	.set _ZN9rocsparseL42csr2bsr_nnz_block_per_row_multipass_kernelILj256ELj64EilEEvT2_S1_S1_S1_S1_21rocsparse_index_base_PKT1_PKS1_S2_PS3_.num_named_barrier, 0
	.set _ZN9rocsparseL42csr2bsr_nnz_block_per_row_multipass_kernelILj256ELj64EilEEvT2_S1_S1_S1_S1_21rocsparse_index_base_PKT1_PKS1_S2_PS3_.private_seg_size, 0
	.set _ZN9rocsparseL42csr2bsr_nnz_block_per_row_multipass_kernelILj256ELj64EilEEvT2_S1_S1_S1_S1_21rocsparse_index_base_PKT1_PKS1_S2_PS3_.uses_vcc, 1
	.set _ZN9rocsparseL42csr2bsr_nnz_block_per_row_multipass_kernelILj256ELj64EilEEvT2_S1_S1_S1_S1_21rocsparse_index_base_PKT1_PKS1_S2_PS3_.uses_flat_scratch, 0
	.set _ZN9rocsparseL42csr2bsr_nnz_block_per_row_multipass_kernelILj256ELj64EilEEvT2_S1_S1_S1_S1_21rocsparse_index_base_PKT1_PKS1_S2_PS3_.has_dyn_sized_stack, 0
	.set _ZN9rocsparseL42csr2bsr_nnz_block_per_row_multipass_kernelILj256ELj64EilEEvT2_S1_S1_S1_S1_21rocsparse_index_base_PKT1_PKS1_S2_PS3_.has_recursion, 0
	.set _ZN9rocsparseL42csr2bsr_nnz_block_per_row_multipass_kernelILj256ELj64EilEEvT2_S1_S1_S1_S1_21rocsparse_index_base_PKT1_PKS1_S2_PS3_.has_indirect_call, 0
	.section	.AMDGPU.csdata,"",@progbits
; Kernel info:
; codeLenInByte = 2176
; TotalNumSgprs: 39
; NumVgprs: 27
; ScratchSize: 0
; MemoryBound: 0
; FloatMode: 240
; IeeeMode: 1
; LDSByteSize: 2064 bytes/workgroup (compile time only)
; SGPRBlocks: 0
; VGPRBlocks: 3
; NumSGPRsForWavesPerEU: 39
; NumVGPRsForWavesPerEU: 27
; Occupancy: 16
; WaveLimiterHint : 0
; COMPUTE_PGM_RSRC2:SCRATCH_EN: 0
; COMPUTE_PGM_RSRC2:USER_SGPR: 6
; COMPUTE_PGM_RSRC2:TRAP_HANDLER: 0
; COMPUTE_PGM_RSRC2:TGID_X_EN: 1
; COMPUTE_PGM_RSRC2:TGID_Y_EN: 0
; COMPUTE_PGM_RSRC2:TGID_Z_EN: 0
; COMPUTE_PGM_RSRC2:TIDIG_COMP_CNT: 0
	.section	.text._ZN9rocsparseL25csr2bsr_nnz_65_inf_kernelILj32EilEEvT1_S1_S1_S1_S1_S1_21rocsparse_index_base_PKT0_PKS1_S2_PS3_S8_,"axG",@progbits,_ZN9rocsparseL25csr2bsr_nnz_65_inf_kernelILj32EilEEvT1_S1_S1_S1_S1_S1_21rocsparse_index_base_PKT0_PKS1_S2_PS3_S8_,comdat
	.globl	_ZN9rocsparseL25csr2bsr_nnz_65_inf_kernelILj32EilEEvT1_S1_S1_S1_S1_S1_21rocsparse_index_base_PKT0_PKS1_S2_PS3_S8_ ; -- Begin function _ZN9rocsparseL25csr2bsr_nnz_65_inf_kernelILj32EilEEvT1_S1_S1_S1_S1_S1_21rocsparse_index_base_PKT0_PKS1_S2_PS3_S8_
	.p2align	8
	.type	_ZN9rocsparseL25csr2bsr_nnz_65_inf_kernelILj32EilEEvT1_S1_S1_S1_S1_S1_21rocsparse_index_base_PKT0_PKS1_S2_PS3_S8_,@function
_ZN9rocsparseL25csr2bsr_nnz_65_inf_kernelILj32EilEEvT1_S1_S1_S1_S1_S1_21rocsparse_index_base_PKT0_PKS1_S2_PS3_S8_: ; @_ZN9rocsparseL25csr2bsr_nnz_65_inf_kernelILj32EilEEvT1_S1_S1_S1_S1_S1_21rocsparse_index_base_PKT0_PKS1_S2_PS3_S8_
; %bb.0:
	s_clause 0x2
	s_load_dwordx8 s[8:15], s[4:5], 0x10
	s_load_dwordx2 s[0:1], s[4:5], 0x58
	s_load_dword s24, s[4:5], 0x30
	s_waitcnt lgkmcnt(0)
	v_mad_u64_u32 v[2:3], null, s14, v0, 0
	s_mul_i32 s3, s6, s15
	s_mul_hi_u32 s7, s6, s14
	s_mul_i32 s2, s6, s14
	s_add_i32 s3, s7, s3
	v_cmp_lt_i64_e64 s7, s[14:15], 1
	s_lshl_b64 s[2:3], s[2:3], 8
	v_mov_b32_e32 v1, v3
	s_add_u32 s2, s0, s2
	s_addc_u32 s3, s1, s3
	s_lshl_b64 s[0:1], s[14:15], 7
	v_cmp_gt_i64_e64 s25, s[14:15], 0
	v_mad_u64_u32 v[3:4], null, s15, v0, v[1:2]
	s_add_u32 s0, s2, s0
	s_addc_u32 s1, s3, s1
	v_mov_b32_e32 v1, 0
	v_lshlrev_b64 v[4:5], 2, v[2:3]
	v_add_co_u32 v2, vcc_lo, s2, v4
	v_add_co_ci_u32_e64 v3, null, s3, v5, vcc_lo
	v_add_co_u32 v4, vcc_lo, s0, v4
	v_add_co_ci_u32_e64 v5, null, s1, v5, vcc_lo
	s_and_b32 vcc_lo, exec_lo, s7
	s_mov_b32 s7, 0
	s_cbranch_vccnz .LBB31_5
; %bb.1:
	s_load_dwordx2 s[16:17], s[4:5], 0x38
	s_mul_i32 s0, s13, s6
	s_mul_hi_u32 s2, s12, s6
	s_mul_i32 s1, s12, s6
	s_add_i32 s18, s2, s0
	v_add_co_u32 v6, s0, s1, v0
	v_add_co_ci_u32_e64 v7, null, s18, 0, s0
	s_load_dwordx2 s[2:3], s[4:5], 0x0
	v_mov_b32_e32 v13, v3
	v_mov_b32_e32 v14, 0
	v_lshlrev_b64 v[8:9], 2, v[6:7]
	v_mov_b32_e32 v7, v5
	v_mov_b32_e32 v6, v4
	;; [unrolled: 1-line block ×3, first 2 shown]
	s_waitcnt lgkmcnt(0)
	v_add_co_u32 v10, vcc_lo, s16, v8
	v_add_co_ci_u32_e64 v11, null, s17, v9, vcc_lo
	v_mov_b32_e32 v9, v1
	v_add_co_u32 v10, vcc_lo, v10, 4
	v_mov_b32_e32 v8, v0
	v_add_co_ci_u32_e64 v11, null, 0, v11, vcc_lo
	s_mov_b64 s[16:17], s[14:15]
	s_inst_prefetch 0x1
	s_branch .LBB31_3
	.p2align	6
.LBB31_2:                               ;   in Loop: Header=BB31_3 Depth=1
	s_or_b32 exec_lo, exec_lo, s0
	v_add_co_u32 v12, vcc_lo, v12, 4
	v_add_co_ci_u32_e64 v13, null, 0, v13, vcc_lo
	v_add_co_u32 v10, vcc_lo, 0x80, v10
	v_add_co_ci_u32_e64 v11, null, 0, v11, vcc_lo
	;; [unrolled: 2-line block ×3, first 2 shown]
	v_add_co_u32 v6, vcc_lo, v6, 4
	s_add_u32 s16, s16, -1
	v_add_co_ci_u32_e64 v7, null, 0, v7, vcc_lo
	s_addc_u32 s17, s17, -1
	s_cmp_eq_u64 s[16:17], 0
	s_cbranch_scc1 .LBB31_5
.LBB31_3:                               ; =>This Inner Loop Header: Depth=1
	v_add_co_u32 v15, vcc_lo, s1, v8
	v_add_co_ci_u32_e64 v16, null, s18, v9, vcc_lo
	v_cmp_gt_i64_e64 s0, s[12:13], v[8:9]
	global_store_dword v[12:13], v14, off
	global_store_dword v[6:7], v14, off
	v_cmp_gt_i64_e32 vcc_lo, s[2:3], v[15:16]
	s_and_b32 s19, vcc_lo, s0
	s_and_saveexec_b32 s0, s19
	s_cbranch_execz .LBB31_2
; %bb.4:                                ;   in Loop: Header=BB31_3 Depth=1
	global_load_dwordx2 v[15:16], v[10:11], off offset:-4
	s_waitcnt vmcnt(0)
	v_subrev_nc_u32_e32 v15, s24, v15
	v_subrev_nc_u32_e32 v16, s24, v16
	global_store_dword v[12:13], v15, off
	global_store_dword v[6:7], v16, off
	s_branch .LBB31_2
.LBB31_5:
	s_inst_prefetch 0x2
	s_load_dwordx2 s[2:3], s[4:5], 0x50
	v_cmp_lt_i64_e64 s0, s[10:11], 1
	s_and_b32 vcc_lo, exec_lo, s0
	v_cmp_eq_u32_e64 s0, 31, v0
	s_cbranch_vccnz .LBB31_24
; %bb.6:
	v_mbcnt_lo_u32_b32 v1, -1, 0
	s_load_dwordx2 s[16:17], s[4:5], 0x40
	v_mov_b32_e32 v25, 0x7c
	s_mov_b32 s26, 0
	s_ashr_i32 s18, s13, 31
	v_xor_b32_e32 v6, 16, v1
	v_xor_b32_e32 v7, 8, v1
	;; [unrolled: 1-line block ×5, first 2 shown]
	v_cmp_gt_i32_e32 vcc_lo, 32, v6
	s_sub_i32 s27, 0, s12
	v_cndmask_b32_e32 v6, v1, v6, vcc_lo
	v_cmp_gt_i32_e32 vcc_lo, 32, v7
	v_lshlrev_b32_e32 v20, 2, v6
	v_cndmask_b32_e32 v7, v1, v7, vcc_lo
	v_cmp_gt_i32_e32 vcc_lo, 32, v8
	v_mov_b32_e32 v6, 0
	v_lshlrev_b32_e32 v21, 2, v7
	v_cndmask_b32_e32 v8, v1, v8, vcc_lo
	v_cmp_gt_i32_e32 vcc_lo, 32, v9
	v_lshlrev_b32_e32 v22, 2, v8
	v_cndmask_b32_e32 v9, v1, v9, vcc_lo
	v_cmp_gt_i32_e32 vcc_lo, 32, v10
	v_lshlrev_b32_e32 v23, 2, v9
	v_cndmask_b32_e32 v1, v1, v10, vcc_lo
	v_mov_b32_e32 v8, 0
	v_mov_b32_e32 v9, 0
	v_lshlrev_b32_e32 v24, 2, v1
	v_mov_b32_e32 v1, 0
	s_branch .LBB31_8
.LBB31_7:                               ;   in Loop: Header=BB31_8 Depth=1
	ds_bpermute_b32 v7, v20, v10
	ds_bpermute_b32 v8, v20, v11
	s_waitcnt lgkmcnt(0)
	v_cmp_lt_i64_e32 vcc_lo, v[7:8], v[10:11]
	v_cndmask_b32_e32 v8, v11, v8, vcc_lo
	v_cndmask_b32_e32 v7, v10, v7, vcc_lo
	ds_bpermute_b32 v10, v21, v8
	ds_bpermute_b32 v9, v21, v7
	s_waitcnt lgkmcnt(0)
	v_cmp_lt_i64_e32 vcc_lo, v[9:10], v[7:8]
	v_cndmask_b32_e32 v8, v8, v10, vcc_lo
	v_cndmask_b32_e32 v7, v7, v9, vcc_lo
	;; [unrolled: 6-line block ×5, first 2 shown]
	ds_bpermute_b32 v9, v25, v8
	ds_bpermute_b32 v8, v25, v7
	s_waitcnt lgkmcnt(0)
	v_cmp_gt_i64_e32 vcc_lo, s[10:11], v[8:9]
	v_add_co_u32 v8, s1, v8, 1
	v_add_co_ci_u32_e64 v9, null, 0, v9, s1
	s_and_b32 s1, s0, vcc_lo
	v_cndmask_b32_e64 v7, 0, 1, s1
	v_cmp_le_i64_e32 vcc_lo, s[10:11], v[8:9]
	v_add_nc_u32_e32 v1, v1, v7
	s_or_b32 s26, vcc_lo, s26
	s_andn2_b32 exec_lo, exec_lo, s26
	s_cbranch_execz .LBB31_23
.LBB31_8:                               ; =>This Loop Header: Depth=1
                                        ;     Child Loop BB31_12 Depth 2
                                        ;       Child Loop BB31_15 Depth 3
	v_mov_b32_e32 v10, s10
	v_mov_b32_e32 v11, s11
	s_andn2_b32 vcc_lo, exec_lo, s25
	s_cbranch_vccnz .LBB31_7
; %bb.9:                                ;   in Loop: Header=BB31_8 Depth=1
	v_mov_b32_e32 v10, s10
	v_mov_b32_e32 v11, s11
	s_mov_b64 s[20:21], 0
	s_branch .LBB31_12
.LBB31_10:                              ;   in Loop: Header=BB31_12 Depth=2
	s_or_b32 exec_lo, exec_lo, s1
.LBB31_11:                              ;   in Loop: Header=BB31_12 Depth=2
	s_or_b32 exec_lo, exec_lo, s28
	s_add_u32 s20, s20, 1
	s_addc_u32 s21, s21, 0
	s_cmp_eq_u64 s[20:21], s[14:15]
	s_cbranch_scc1 .LBB31_7
.LBB31_12:                              ;   Parent Loop BB31_8 Depth=1
                                        ; =>  This Loop Header: Depth=2
                                        ;       Child Loop BB31_15 Depth 3
	s_lshl_b64 s[22:23], s[20:21], 2
	s_mov_b32 s28, exec_lo
	v_add_co_u32 v12, vcc_lo, v2, s22
	v_add_co_ci_u32_e64 v13, null, s23, v3, vcc_lo
	v_add_co_u32 v14, vcc_lo, v4, s22
	v_add_co_ci_u32_e64 v15, null, s23, v5, vcc_lo
	s_clause 0x1
	global_load_dword v18, v[12:13], off
	global_load_dword v26, v[14:15], off
	s_waitcnt vmcnt(0)
	v_cmpx_lt_i32_e64 v18, v26
	s_cbranch_execz .LBB31_11
; %bb.13:                               ;   in Loop: Header=BB31_12 Depth=2
	v_ashrrev_i32_e32 v19, 31, v18
	s_mov_b32 s29, 0
                                        ; implicit-def: $sgpr30
                                        ; implicit-def: $sgpr31
	v_lshlrev_b64 v[14:15], 3, v[18:19]
	s_waitcnt lgkmcnt(0)
	v_add_co_u32 v14, vcc_lo, s16, v14
	v_add_co_ci_u32_e64 v15, null, s17, v15, vcc_lo
	s_branch .LBB31_15
.LBB31_14:                              ;   in Loop: Header=BB31_15 Depth=3
	s_or_b32 exec_lo, exec_lo, s19
	s_and_b32 s1, exec_lo, s1
	s_or_b32 s29, s1, s29
	s_andn2_b32 s1, s30, exec_lo
	s_and_b32 s19, s31, exec_lo
	s_or_b32 s30, s1, s19
	s_andn2_b32 exec_lo, exec_lo, s29
	s_cbranch_execz .LBB31_21
.LBB31_15:                              ;   Parent Loop BB31_8 Depth=1
                                        ;     Parent Loop BB31_12 Depth=2
                                        ; =>    This Inner Loop Header: Depth=3
	global_load_dwordx2 v[16:17], v[14:15], off
	s_waitcnt vmcnt(0)
	v_sub_co_u32 v19, vcc_lo, v16, s24
	v_subrev_co_ci_u32_e64 v27, null, 0, v17, vcc_lo
                                        ; implicit-def: $vgpr16_vgpr17
	v_or_b32_e32 v7, s13, v27
	v_cmp_ne_u64_e32 vcc_lo, 0, v[6:7]
	v_mov_b32_e32 v7, v18
	s_and_saveexec_b32 s1, vcc_lo
	s_xor_b32 s33, exec_lo, s1
	s_cbranch_execz .LBB31_17
; %bb.16:                               ;   in Loop: Header=BB31_15 Depth=3
	s_add_u32 s22, s12, s18
	s_mov_b32 s19, s18
	s_addc_u32 s23, s13, s18
	v_ashrrev_i32_e32 v29, 31, v27
	s_xor_b64 s[22:23], s[22:23], s[18:19]
	v_cvt_f32_u32_e32 v16, s22
	v_cvt_f32_u32_e32 v17, s23
	s_sub_u32 s1, 0, s22
	s_subb_u32 s35, 0, s23
	v_add_co_u32 v18, vcc_lo, v19, v29
	v_fmac_f32_e32 v16, 0x4f800000, v17
	v_xor_b32_e32 v30, v18, v29
	v_rcp_f32_e32 v16, v16
	v_mul_f32_e32 v16, 0x5f7ffffc, v16
	v_mul_f32_e32 v17, 0x2f800000, v16
	v_trunc_f32_e32 v17, v17
	v_fmac_f32_e32 v16, 0xcf800000, v17
	v_cvt_u32_f32_e32 v17, v17
	v_cvt_u32_f32_e32 v16, v16
	v_readfirstlane_b32 s19, v17
	v_readfirstlane_b32 s34, v16
	s_mul_i32 s36, s1, s19
	v_add_co_ci_u32_e64 v16, null, v27, v29, vcc_lo
	s_mul_hi_u32 s38, s1, s34
	s_mul_i32 s37, s35, s34
	s_add_i32 s36, s38, s36
	s_mul_i32 s39, s1, s34
	s_add_i32 s36, s36, s37
	s_mul_hi_u32 s38, s34, s39
	s_mul_i32 s41, s34, s36
	s_mul_hi_u32 s40, s19, s39
	s_mul_i32 s37, s19, s39
	s_mul_hi_u32 s39, s34, s36
	s_add_u32 s38, s38, s41
	s_addc_u32 s39, 0, s39
	s_mul_hi_u32 s42, s19, s36
	s_add_u32 s37, s38, s37
	s_mul_i32 s36, s19, s36
	s_addc_u32 s37, s39, s40
	s_addc_u32 s38, s42, 0
	s_add_u32 s36, s37, s36
	s_addc_u32 s37, 0, s38
	s_add_u32 s34, s34, s36
	s_cselect_b32 s36, -1, 0
	s_mul_hi_u32 s38, s1, s34
	s_cmp_lg_u32 s36, 0
	s_mul_i32 s36, s1, s34
	s_addc_u32 s19, s19, s37
	s_mul_i32 s35, s35, s34
	s_mul_i32 s1, s1, s19
	s_mul_hi_u32 s37, s34, s36
	s_add_i32 s1, s38, s1
	s_mul_hi_u32 s38, s19, s36
	s_add_i32 s1, s1, s35
	s_mul_i32 s35, s19, s36
	s_mul_i32 s40, s34, s1
	s_mul_hi_u32 s39, s34, s1
	s_add_u32 s37, s37, s40
	s_addc_u32 s39, 0, s39
	s_mul_hi_u32 s36, s19, s1
	s_add_u32 s35, s37, s35
	s_mul_i32 s1, s19, s1
	s_addc_u32 s35, s39, s38
	s_addc_u32 s36, s36, 0
	s_add_u32 s1, s35, s1
	s_addc_u32 s35, 0, s36
	s_add_u32 s1, s34, s1
	s_cselect_b32 s34, -1, 0
	v_xor_b32_e32 v31, v16, v29
	s_cmp_lg_u32 s34, 0
	v_mul_hi_u32 v32, v30, s1
	s_addc_u32 s19, s19, s35
	v_mad_u64_u32 v[16:17], null, v30, s19, 0
	v_mad_u64_u32 v[18:19], null, v31, s1, 0
	;; [unrolled: 1-line block ×3, first 2 shown]
	v_add_co_u32 v16, vcc_lo, v32, v16
	v_add_co_ci_u32_e64 v17, null, 0, v17, vcc_lo
	v_add_co_u32 v16, vcc_lo, v16, v18
	v_add_co_ci_u32_e32 v16, vcc_lo, v17, v19, vcc_lo
	v_add_co_ci_u32_e32 v17, vcc_lo, 0, v28, vcc_lo
	v_add_co_u32 v18, vcc_lo, v16, v27
	v_add_co_ci_u32_e64 v19, null, 0, v17, vcc_lo
	v_mul_lo_u32 v27, s23, v18
	v_mad_u64_u32 v[16:17], null, s22, v18, 0
	v_mul_lo_u32 v28, s22, v19
	v_sub_co_u32 v16, vcc_lo, v30, v16
	v_add3_u32 v17, v17, v28, v27
	v_add_co_u32 v28, s1, v18, 2
	v_add_co_ci_u32_e64 v30, null, 0, v19, s1
	v_sub_nc_u32_e32 v27, v31, v17
	v_sub_co_u32 v32, s1, v16, s22
	v_sub_co_ci_u32_e64 v17, null, v31, v17, vcc_lo
	v_subrev_co_ci_u32_e64 v27, null, s23, v27, vcc_lo
	v_cmp_le_u32_e32 vcc_lo, s22, v32
	v_subrev_co_ci_u32_e64 v27, null, 0, v27, s1
	v_cndmask_b32_e64 v31, 0, -1, vcc_lo
	v_cmp_le_u32_e32 vcc_lo, s23, v27
	v_cndmask_b32_e64 v32, 0, -1, vcc_lo
	v_cmp_le_u32_e32 vcc_lo, s22, v16
	;; [unrolled: 2-line block ×3, first 2 shown]
	v_cndmask_b32_e64 v33, 0, -1, vcc_lo
	v_cmp_eq_u32_e32 vcc_lo, s23, v27
	v_cndmask_b32_e32 v27, v32, v31, vcc_lo
	v_add_co_u32 v31, vcc_lo, v18, 1
	v_add_co_ci_u32_e64 v32, null, 0, v19, vcc_lo
	v_cmp_eq_u32_e32 vcc_lo, s23, v17
	v_cndmask_b32_e32 v16, v33, v16, vcc_lo
	v_cmp_ne_u32_e32 vcc_lo, 0, v27
	v_xor_b32_e32 v27, s18, v29
	v_cmp_ne_u32_e64 s1, 0, v16
	v_cndmask_b32_e32 v16, v31, v28, vcc_lo
	v_cndmask_b32_e32 v17, v32, v30, vcc_lo
	v_cndmask_b32_e64 v16, v18, v16, s1
	v_cndmask_b32_e64 v17, v19, v17, s1
                                        ; implicit-def: $vgpr19
	v_xor_b32_e32 v16, v16, v27
	v_xor_b32_e32 v17, v17, v27
	v_sub_co_u32 v16, vcc_lo, v16, v27
	v_sub_co_ci_u32_e64 v17, null, v17, v27, vcc_lo
.LBB31_17:                              ;   in Loop: Header=BB31_15 Depth=3
	s_andn2_saveexec_b32 s1, s33
	s_cbranch_execz .LBB31_19
; %bb.18:                               ;   in Loop: Header=BB31_15 Depth=3
	v_cvt_f32_u32_e32 v16, s12
	v_rcp_iflag_f32_e32 v16, v16
	v_mul_f32_e32 v16, 0x4f7ffffe, v16
	v_cvt_u32_f32_e32 v16, v16
	v_mul_lo_u32 v17, s27, v16
	v_mul_hi_u32 v17, v16, v17
	v_add_nc_u32_e32 v16, v16, v17
	v_mul_hi_u32 v16, v19, v16
	v_mul_lo_u32 v17, v16, s12
	v_add_nc_u32_e32 v18, 1, v16
	v_sub_nc_u32_e32 v17, v19, v17
	v_subrev_nc_u32_e32 v19, s12, v17
	v_cmp_le_u32_e32 vcc_lo, s12, v17
	v_cndmask_b32_e32 v17, v17, v19, vcc_lo
	v_cndmask_b32_e32 v16, v16, v18, vcc_lo
	v_cmp_le_u32_e32 vcc_lo, s12, v17
	v_add_nc_u32_e32 v18, 1, v16
	v_mov_b32_e32 v17, v6
	v_cndmask_b32_e32 v16, v16, v18, vcc_lo
.LBB31_19:                              ;   in Loop: Header=BB31_15 Depth=3
	s_or_b32 exec_lo, exec_lo, s1
	s_mov_b32 s1, -1
	s_or_b32 s31, s31, exec_lo
	s_mov_b32 s19, exec_lo
                                        ; implicit-def: $vgpr18
	v_cmpx_lt_i64_e64 v[16:17], v[8:9]
	s_cbranch_execz .LBB31_14
; %bb.20:                               ;   in Loop: Header=BB31_15 Depth=3
	v_add_nc_u32_e32 v18, 1, v7
	v_add_co_u32 v14, s1, v14, 8
	v_add_co_ci_u32_e64 v15, null, 0, v15, s1
	v_cmp_ge_i32_e32 vcc_lo, v18, v26
	s_andn2_b32 s31, s31, exec_lo
	s_orn2_b32 s1, vcc_lo, exec_lo
	s_branch .LBB31_14
.LBB31_21:                              ;   in Loop: Header=BB31_12 Depth=2
	s_or_b32 exec_lo, exec_lo, s29
	s_and_saveexec_b32 s1, s30
	s_xor_b32 s1, exec_lo, s1
	s_cbranch_execz .LBB31_10
; %bb.22:                               ;   in Loop: Header=BB31_12 Depth=2
	v_cmp_lt_i64_e32 vcc_lo, v[16:17], v[10:11]
	global_store_dword v[12:13], v7, off
	v_cndmask_b32_e32 v11, v11, v17, vcc_lo
	v_cndmask_b32_e32 v10, v10, v16, vcc_lo
	s_branch .LBB31_10
.LBB31_23:
	s_or_b32 exec_lo, exec_lo, s26
.LBB31_24:
	v_cmp_gt_i64_e64 s0, s[8:9], s[6:7]
	v_cmp_eq_u32_e32 vcc_lo, 31, v0
	s_and_b32 s0, vcc_lo, s0
	s_and_saveexec_b32 s1, s0
	s_cbranch_execz .LBB31_26
; %bb.25:
	s_load_dword s0, s[4:5], 0x48
	v_mov_b32_e32 v0, 0
	s_waitcnt lgkmcnt(0)
	v_mov_b32_e32 v2, s0
	s_lshl_b64 s[0:1], s[6:7], 2
	s_add_u32 s0, s2, s0
	s_addc_u32 s1, s3, s1
	global_store_dword v0, v2, s[2:3]
	global_store_dword v0, v1, s[0:1] offset:4
.LBB31_26:
	s_endpgm
	.section	.rodata,"a",@progbits
	.p2align	6, 0x0
	.amdhsa_kernel _ZN9rocsparseL25csr2bsr_nnz_65_inf_kernelILj32EilEEvT1_S1_S1_S1_S1_S1_21rocsparse_index_base_PKT0_PKS1_S2_PS3_S8_
		.amdhsa_group_segment_fixed_size 0
		.amdhsa_private_segment_fixed_size 0
		.amdhsa_kernarg_size 96
		.amdhsa_user_sgpr_count 6
		.amdhsa_user_sgpr_private_segment_buffer 1
		.amdhsa_user_sgpr_dispatch_ptr 0
		.amdhsa_user_sgpr_queue_ptr 0
		.amdhsa_user_sgpr_kernarg_segment_ptr 1
		.amdhsa_user_sgpr_dispatch_id 0
		.amdhsa_user_sgpr_flat_scratch_init 0
		.amdhsa_user_sgpr_private_segment_size 0
		.amdhsa_wavefront_size32 1
		.amdhsa_uses_dynamic_stack 0
		.amdhsa_system_sgpr_private_segment_wavefront_offset 0
		.amdhsa_system_sgpr_workgroup_id_x 1
		.amdhsa_system_sgpr_workgroup_id_y 0
		.amdhsa_system_sgpr_workgroup_id_z 0
		.amdhsa_system_sgpr_workgroup_info 0
		.amdhsa_system_vgpr_workitem_id 0
		.amdhsa_next_free_vgpr 34
		.amdhsa_next_free_sgpr 43
		.amdhsa_reserve_vcc 1
		.amdhsa_reserve_flat_scratch 0
		.amdhsa_float_round_mode_32 0
		.amdhsa_float_round_mode_16_64 0
		.amdhsa_float_denorm_mode_32 3
		.amdhsa_float_denorm_mode_16_64 3
		.amdhsa_dx10_clamp 1
		.amdhsa_ieee_mode 1
		.amdhsa_fp16_overflow 0
		.amdhsa_workgroup_processor_mode 1
		.amdhsa_memory_ordered 1
		.amdhsa_forward_progress 1
		.amdhsa_shared_vgpr_count 0
		.amdhsa_exception_fp_ieee_invalid_op 0
		.amdhsa_exception_fp_denorm_src 0
		.amdhsa_exception_fp_ieee_div_zero 0
		.amdhsa_exception_fp_ieee_overflow 0
		.amdhsa_exception_fp_ieee_underflow 0
		.amdhsa_exception_fp_ieee_inexact 0
		.amdhsa_exception_int_div_zero 0
	.end_amdhsa_kernel
	.section	.text._ZN9rocsparseL25csr2bsr_nnz_65_inf_kernelILj32EilEEvT1_S1_S1_S1_S1_S1_21rocsparse_index_base_PKT0_PKS1_S2_PS3_S8_,"axG",@progbits,_ZN9rocsparseL25csr2bsr_nnz_65_inf_kernelILj32EilEEvT1_S1_S1_S1_S1_S1_21rocsparse_index_base_PKT0_PKS1_S2_PS3_S8_,comdat
.Lfunc_end31:
	.size	_ZN9rocsparseL25csr2bsr_nnz_65_inf_kernelILj32EilEEvT1_S1_S1_S1_S1_S1_21rocsparse_index_base_PKT0_PKS1_S2_PS3_S8_, .Lfunc_end31-_ZN9rocsparseL25csr2bsr_nnz_65_inf_kernelILj32EilEEvT1_S1_S1_S1_S1_S1_21rocsparse_index_base_PKT0_PKS1_S2_PS3_S8_
                                        ; -- End function
	.set _ZN9rocsparseL25csr2bsr_nnz_65_inf_kernelILj32EilEEvT1_S1_S1_S1_S1_S1_21rocsparse_index_base_PKT0_PKS1_S2_PS3_S8_.num_vgpr, 34
	.set _ZN9rocsparseL25csr2bsr_nnz_65_inf_kernelILj32EilEEvT1_S1_S1_S1_S1_S1_21rocsparse_index_base_PKT0_PKS1_S2_PS3_S8_.num_agpr, 0
	.set _ZN9rocsparseL25csr2bsr_nnz_65_inf_kernelILj32EilEEvT1_S1_S1_S1_S1_S1_21rocsparse_index_base_PKT0_PKS1_S2_PS3_S8_.numbered_sgpr, 43
	.set _ZN9rocsparseL25csr2bsr_nnz_65_inf_kernelILj32EilEEvT1_S1_S1_S1_S1_S1_21rocsparse_index_base_PKT0_PKS1_S2_PS3_S8_.num_named_barrier, 0
	.set _ZN9rocsparseL25csr2bsr_nnz_65_inf_kernelILj32EilEEvT1_S1_S1_S1_S1_S1_21rocsparse_index_base_PKT0_PKS1_S2_PS3_S8_.private_seg_size, 0
	.set _ZN9rocsparseL25csr2bsr_nnz_65_inf_kernelILj32EilEEvT1_S1_S1_S1_S1_S1_21rocsparse_index_base_PKT0_PKS1_S2_PS3_S8_.uses_vcc, 1
	.set _ZN9rocsparseL25csr2bsr_nnz_65_inf_kernelILj32EilEEvT1_S1_S1_S1_S1_S1_21rocsparse_index_base_PKT0_PKS1_S2_PS3_S8_.uses_flat_scratch, 0
	.set _ZN9rocsparseL25csr2bsr_nnz_65_inf_kernelILj32EilEEvT1_S1_S1_S1_S1_S1_21rocsparse_index_base_PKT0_PKS1_S2_PS3_S8_.has_dyn_sized_stack, 0
	.set _ZN9rocsparseL25csr2bsr_nnz_65_inf_kernelILj32EilEEvT1_S1_S1_S1_S1_S1_21rocsparse_index_base_PKT0_PKS1_S2_PS3_S8_.has_recursion, 0
	.set _ZN9rocsparseL25csr2bsr_nnz_65_inf_kernelILj32EilEEvT1_S1_S1_S1_S1_S1_21rocsparse_index_base_PKT0_PKS1_S2_PS3_S8_.has_indirect_call, 0
	.section	.AMDGPU.csdata,"",@progbits
; Kernel info:
; codeLenInByte = 2076
; TotalNumSgprs: 45
; NumVgprs: 34
; ScratchSize: 0
; MemoryBound: 0
; FloatMode: 240
; IeeeMode: 1
; LDSByteSize: 0 bytes/workgroup (compile time only)
; SGPRBlocks: 0
; VGPRBlocks: 4
; NumSGPRsForWavesPerEU: 45
; NumVGPRsForWavesPerEU: 34
; Occupancy: 16
; WaveLimiterHint : 0
; COMPUTE_PGM_RSRC2:SCRATCH_EN: 0
; COMPUTE_PGM_RSRC2:USER_SGPR: 6
; COMPUTE_PGM_RSRC2:TRAP_HANDLER: 0
; COMPUTE_PGM_RSRC2:TGID_X_EN: 1
; COMPUTE_PGM_RSRC2:TGID_Y_EN: 0
; COMPUTE_PGM_RSRC2:TGID_Z_EN: 0
; COMPUTE_PGM_RSRC2:TIDIG_COMP_CNT: 0
	.section	.text._ZN9rocsparseL36csr2bsr_nnz_compute_nnz_total_kernelILj1EilEEvT1_PKT0_PS2_,"axG",@progbits,_ZN9rocsparseL36csr2bsr_nnz_compute_nnz_total_kernelILj1EilEEvT1_PKT0_PS2_,comdat
	.globl	_ZN9rocsparseL36csr2bsr_nnz_compute_nnz_total_kernelILj1EilEEvT1_PKT0_PS2_ ; -- Begin function _ZN9rocsparseL36csr2bsr_nnz_compute_nnz_total_kernelILj1EilEEvT1_PKT0_PS2_
	.p2align	8
	.type	_ZN9rocsparseL36csr2bsr_nnz_compute_nnz_total_kernelILj1EilEEvT1_PKT0_PS2_,@function
_ZN9rocsparseL36csr2bsr_nnz_compute_nnz_total_kernelILj1EilEEvT1_PKT0_PS2_: ; @_ZN9rocsparseL36csr2bsr_nnz_compute_nnz_total_kernelILj1EilEEvT1_PKT0_PS2_
; %bb.0:
	s_sub_i32 s0, 0, s6
	s_cmp_lg_u32 s0, 0
	s_cbranch_scc1 .LBB32_2
; %bb.1:
	s_clause 0x1
	s_load_dwordx4 s[0:3], s[4:5], 0x0
	s_load_dwordx2 s[4:5], s[4:5], 0x10
	v_mov_b32_e32 v0, 0
	s_waitcnt lgkmcnt(0)
	s_lshl_b64 s[0:1], s[0:1], 2
	s_add_u32 s0, s2, s0
	s_addc_u32 s1, s3, s1
	s_clause 0x1
	s_load_dword s0, s[0:1], 0x0
	s_load_dword s1, s[2:3], 0x0
	s_waitcnt lgkmcnt(0)
	s_sub_i32 s0, s0, s1
	v_mov_b32_e32 v1, s0
	global_store_dword v0, v1, s[4:5]
.LBB32_2:
	s_endpgm
	.section	.rodata,"a",@progbits
	.p2align	6, 0x0
	.amdhsa_kernel _ZN9rocsparseL36csr2bsr_nnz_compute_nnz_total_kernelILj1EilEEvT1_PKT0_PS2_
		.amdhsa_group_segment_fixed_size 0
		.amdhsa_private_segment_fixed_size 0
		.amdhsa_kernarg_size 24
		.amdhsa_user_sgpr_count 6
		.amdhsa_user_sgpr_private_segment_buffer 1
		.amdhsa_user_sgpr_dispatch_ptr 0
		.amdhsa_user_sgpr_queue_ptr 0
		.amdhsa_user_sgpr_kernarg_segment_ptr 1
		.amdhsa_user_sgpr_dispatch_id 0
		.amdhsa_user_sgpr_flat_scratch_init 0
		.amdhsa_user_sgpr_private_segment_size 0
		.amdhsa_wavefront_size32 1
		.amdhsa_uses_dynamic_stack 0
		.amdhsa_system_sgpr_private_segment_wavefront_offset 0
		.amdhsa_system_sgpr_workgroup_id_x 1
		.amdhsa_system_sgpr_workgroup_id_y 0
		.amdhsa_system_sgpr_workgroup_id_z 0
		.amdhsa_system_sgpr_workgroup_info 0
		.amdhsa_system_vgpr_workitem_id 0
		.amdhsa_next_free_vgpr 2
		.amdhsa_next_free_sgpr 7
		.amdhsa_reserve_vcc 0
		.amdhsa_reserve_flat_scratch 0
		.amdhsa_float_round_mode_32 0
		.amdhsa_float_round_mode_16_64 0
		.amdhsa_float_denorm_mode_32 3
		.amdhsa_float_denorm_mode_16_64 3
		.amdhsa_dx10_clamp 1
		.amdhsa_ieee_mode 1
		.amdhsa_fp16_overflow 0
		.amdhsa_workgroup_processor_mode 1
		.amdhsa_memory_ordered 1
		.amdhsa_forward_progress 1
		.amdhsa_shared_vgpr_count 0
		.amdhsa_exception_fp_ieee_invalid_op 0
		.amdhsa_exception_fp_denorm_src 0
		.amdhsa_exception_fp_ieee_div_zero 0
		.amdhsa_exception_fp_ieee_overflow 0
		.amdhsa_exception_fp_ieee_underflow 0
		.amdhsa_exception_fp_ieee_inexact 0
		.amdhsa_exception_int_div_zero 0
	.end_amdhsa_kernel
	.section	.text._ZN9rocsparseL36csr2bsr_nnz_compute_nnz_total_kernelILj1EilEEvT1_PKT0_PS2_,"axG",@progbits,_ZN9rocsparseL36csr2bsr_nnz_compute_nnz_total_kernelILj1EilEEvT1_PKT0_PS2_,comdat
.Lfunc_end32:
	.size	_ZN9rocsparseL36csr2bsr_nnz_compute_nnz_total_kernelILj1EilEEvT1_PKT0_PS2_, .Lfunc_end32-_ZN9rocsparseL36csr2bsr_nnz_compute_nnz_total_kernelILj1EilEEvT1_PKT0_PS2_
                                        ; -- End function
	.set _ZN9rocsparseL36csr2bsr_nnz_compute_nnz_total_kernelILj1EilEEvT1_PKT0_PS2_.num_vgpr, 2
	.set _ZN9rocsparseL36csr2bsr_nnz_compute_nnz_total_kernelILj1EilEEvT1_PKT0_PS2_.num_agpr, 0
	.set _ZN9rocsparseL36csr2bsr_nnz_compute_nnz_total_kernelILj1EilEEvT1_PKT0_PS2_.numbered_sgpr, 7
	.set _ZN9rocsparseL36csr2bsr_nnz_compute_nnz_total_kernelILj1EilEEvT1_PKT0_PS2_.num_named_barrier, 0
	.set _ZN9rocsparseL36csr2bsr_nnz_compute_nnz_total_kernelILj1EilEEvT1_PKT0_PS2_.private_seg_size, 0
	.set _ZN9rocsparseL36csr2bsr_nnz_compute_nnz_total_kernelILj1EilEEvT1_PKT0_PS2_.uses_vcc, 0
	.set _ZN9rocsparseL36csr2bsr_nnz_compute_nnz_total_kernelILj1EilEEvT1_PKT0_PS2_.uses_flat_scratch, 0
	.set _ZN9rocsparseL36csr2bsr_nnz_compute_nnz_total_kernelILj1EilEEvT1_PKT0_PS2_.has_dyn_sized_stack, 0
	.set _ZN9rocsparseL36csr2bsr_nnz_compute_nnz_total_kernelILj1EilEEvT1_PKT0_PS2_.has_recursion, 0
	.set _ZN9rocsparseL36csr2bsr_nnz_compute_nnz_total_kernelILj1EilEEvT1_PKT0_PS2_.has_indirect_call, 0
	.section	.AMDGPU.csdata,"",@progbits
; Kernel info:
; codeLenInByte = 96
; TotalNumSgprs: 7
; NumVgprs: 2
; ScratchSize: 0
; MemoryBound: 0
; FloatMode: 240
; IeeeMode: 1
; LDSByteSize: 0 bytes/workgroup (compile time only)
; SGPRBlocks: 0
; VGPRBlocks: 0
; NumSGPRsForWavesPerEU: 7
; NumVGPRsForWavesPerEU: 2
; Occupancy: 16
; WaveLimiterHint : 0
; COMPUTE_PGM_RSRC2:SCRATCH_EN: 0
; COMPUTE_PGM_RSRC2:USER_SGPR: 6
; COMPUTE_PGM_RSRC2:TRAP_HANDLER: 0
; COMPUTE_PGM_RSRC2:TGID_X_EN: 1
; COMPUTE_PGM_RSRC2:TGID_Y_EN: 0
; COMPUTE_PGM_RSRC2:TGID_Z_EN: 0
; COMPUTE_PGM_RSRC2:TIDIG_COMP_CNT: 0
	.section	.text._ZN9rocsparseL39csr2bsr_nnz_block_dim_equals_one_kernelILj256EllEEvT1_21rocsparse_index_base_PKT0_S2_PS3_S6_,"axG",@progbits,_ZN9rocsparseL39csr2bsr_nnz_block_dim_equals_one_kernelILj256EllEEvT1_21rocsparse_index_base_PKT0_S2_PS3_S6_,comdat
	.globl	_ZN9rocsparseL39csr2bsr_nnz_block_dim_equals_one_kernelILj256EllEEvT1_21rocsparse_index_base_PKT0_S2_PS3_S6_ ; -- Begin function _ZN9rocsparseL39csr2bsr_nnz_block_dim_equals_one_kernelILj256EllEEvT1_21rocsparse_index_base_PKT0_S2_PS3_S6_
	.p2align	8
	.type	_ZN9rocsparseL39csr2bsr_nnz_block_dim_equals_one_kernelILj256EllEEvT1_21rocsparse_index_base_PKT0_S2_PS3_S6_,@function
_ZN9rocsparseL39csr2bsr_nnz_block_dim_equals_one_kernelILj256EllEEvT1_21rocsparse_index_base_PKT0_S2_PS3_S6_: ; @_ZN9rocsparseL39csr2bsr_nnz_block_dim_equals_one_kernelILj256EllEEvT1_21rocsparse_index_base_PKT0_S2_PS3_S6_
; %bb.0:
	s_clause 0x2
	s_load_dword s7, s[4:5], 0x3c
	s_load_dwordx2 s[2:3], s[4:5], 0x0
	s_load_dwordx2 s[0:1], s[4:5], 0x10
	s_waitcnt lgkmcnt(0)
	s_and_b32 s7, s7, 0xffff
	v_mad_u64_u32 v[0:1], null, s6, s7, v[0:1]
	v_mov_b32_e32 v1, 0
	s_mov_b32 s6, exec_lo
	v_cmpx_ge_i64_e64 s[2:3], v[0:1]
	s_cbranch_execz .LBB33_2
; %bb.1:
	v_lshlrev_b64 v[1:2], 3, v[0:1]
	v_add_co_u32 v3, vcc_lo, s0, v1
	v_add_co_ci_u32_e64 v4, null, s1, v2, vcc_lo
	global_load_dwordx2 v[3:4], v[3:4], off
	s_clause 0x2
	s_load_dwordx2 s[8:9], s[4:5], 0x20
	s_load_dword s7, s[4:5], 0x8
	s_load_dword s10, s[4:5], 0x18
	s_waitcnt lgkmcnt(0)
	v_add_co_u32 v1, vcc_lo, s8, v1
	s_sub_u32 s7, s10, s7
	v_add_co_ci_u32_e64 v2, null, s9, v2, vcc_lo
	s_subb_u32 s8, 0, 0
	s_waitcnt vmcnt(0)
	v_add_co_u32 v3, vcc_lo, s7, v3
	v_add_co_ci_u32_e64 v4, null, s8, v4, vcc_lo
	global_store_dwordx2 v[1:2], v[3:4], off
.LBB33_2:
	s_or_b32 exec_lo, exec_lo, s6
	s_mov_b32 s6, exec_lo
	v_cmpx_eq_u32_e32 0, v0
	s_cbranch_execz .LBB33_4
; %bb.3:
	s_lshl_b64 s[2:3], s[2:3], 3
	v_mov_b32_e32 v2, 0
	s_add_u32 s2, s0, s2
	s_addc_u32 s3, s1, s3
	s_clause 0x1
	s_load_dwordx2 s[2:3], s[2:3], 0x0
	s_load_dwordx2 s[0:1], s[0:1], 0x0
	;; [unrolled: 1-line block ×3, first 2 shown]
	s_waitcnt lgkmcnt(0)
	s_sub_u32 s0, s2, s0
	s_subb_u32 s1, s3, s1
	v_mov_b32_e32 v0, s0
	v_mov_b32_e32 v1, s1
	global_store_dwordx2 v2, v[0:1], s[4:5]
.LBB33_4:
	s_endpgm
	.section	.rodata,"a",@progbits
	.p2align	6, 0x0
	.amdhsa_kernel _ZN9rocsparseL39csr2bsr_nnz_block_dim_equals_one_kernelILj256EllEEvT1_21rocsparse_index_base_PKT0_S2_PS3_S6_
		.amdhsa_group_segment_fixed_size 0
		.amdhsa_private_segment_fixed_size 0
		.amdhsa_kernarg_size 304
		.amdhsa_user_sgpr_count 6
		.amdhsa_user_sgpr_private_segment_buffer 1
		.amdhsa_user_sgpr_dispatch_ptr 0
		.amdhsa_user_sgpr_queue_ptr 0
		.amdhsa_user_sgpr_kernarg_segment_ptr 1
		.amdhsa_user_sgpr_dispatch_id 0
		.amdhsa_user_sgpr_flat_scratch_init 0
		.amdhsa_user_sgpr_private_segment_size 0
		.amdhsa_wavefront_size32 1
		.amdhsa_uses_dynamic_stack 0
		.amdhsa_system_sgpr_private_segment_wavefront_offset 0
		.amdhsa_system_sgpr_workgroup_id_x 1
		.amdhsa_system_sgpr_workgroup_id_y 0
		.amdhsa_system_sgpr_workgroup_id_z 0
		.amdhsa_system_sgpr_workgroup_info 0
		.amdhsa_system_vgpr_workitem_id 0
		.amdhsa_next_free_vgpr 5
		.amdhsa_next_free_sgpr 11
		.amdhsa_reserve_vcc 1
		.amdhsa_reserve_flat_scratch 0
		.amdhsa_float_round_mode_32 0
		.amdhsa_float_round_mode_16_64 0
		.amdhsa_float_denorm_mode_32 3
		.amdhsa_float_denorm_mode_16_64 3
		.amdhsa_dx10_clamp 1
		.amdhsa_ieee_mode 1
		.amdhsa_fp16_overflow 0
		.amdhsa_workgroup_processor_mode 1
		.amdhsa_memory_ordered 1
		.amdhsa_forward_progress 1
		.amdhsa_shared_vgpr_count 0
		.amdhsa_exception_fp_ieee_invalid_op 0
		.amdhsa_exception_fp_denorm_src 0
		.amdhsa_exception_fp_ieee_div_zero 0
		.amdhsa_exception_fp_ieee_overflow 0
		.amdhsa_exception_fp_ieee_underflow 0
		.amdhsa_exception_fp_ieee_inexact 0
		.amdhsa_exception_int_div_zero 0
	.end_amdhsa_kernel
	.section	.text._ZN9rocsparseL39csr2bsr_nnz_block_dim_equals_one_kernelILj256EllEEvT1_21rocsparse_index_base_PKT0_S2_PS3_S6_,"axG",@progbits,_ZN9rocsparseL39csr2bsr_nnz_block_dim_equals_one_kernelILj256EllEEvT1_21rocsparse_index_base_PKT0_S2_PS3_S6_,comdat
.Lfunc_end33:
	.size	_ZN9rocsparseL39csr2bsr_nnz_block_dim_equals_one_kernelILj256EllEEvT1_21rocsparse_index_base_PKT0_S2_PS3_S6_, .Lfunc_end33-_ZN9rocsparseL39csr2bsr_nnz_block_dim_equals_one_kernelILj256EllEEvT1_21rocsparse_index_base_PKT0_S2_PS3_S6_
                                        ; -- End function
	.set _ZN9rocsparseL39csr2bsr_nnz_block_dim_equals_one_kernelILj256EllEEvT1_21rocsparse_index_base_PKT0_S2_PS3_S6_.num_vgpr, 5
	.set _ZN9rocsparseL39csr2bsr_nnz_block_dim_equals_one_kernelILj256EllEEvT1_21rocsparse_index_base_PKT0_S2_PS3_S6_.num_agpr, 0
	.set _ZN9rocsparseL39csr2bsr_nnz_block_dim_equals_one_kernelILj256EllEEvT1_21rocsparse_index_base_PKT0_S2_PS3_S6_.numbered_sgpr, 11
	.set _ZN9rocsparseL39csr2bsr_nnz_block_dim_equals_one_kernelILj256EllEEvT1_21rocsparse_index_base_PKT0_S2_PS3_S6_.num_named_barrier, 0
	.set _ZN9rocsparseL39csr2bsr_nnz_block_dim_equals_one_kernelILj256EllEEvT1_21rocsparse_index_base_PKT0_S2_PS3_S6_.private_seg_size, 0
	.set _ZN9rocsparseL39csr2bsr_nnz_block_dim_equals_one_kernelILj256EllEEvT1_21rocsparse_index_base_PKT0_S2_PS3_S6_.uses_vcc, 1
	.set _ZN9rocsparseL39csr2bsr_nnz_block_dim_equals_one_kernelILj256EllEEvT1_21rocsparse_index_base_PKT0_S2_PS3_S6_.uses_flat_scratch, 0
	.set _ZN9rocsparseL39csr2bsr_nnz_block_dim_equals_one_kernelILj256EllEEvT1_21rocsparse_index_base_PKT0_S2_PS3_S6_.has_dyn_sized_stack, 0
	.set _ZN9rocsparseL39csr2bsr_nnz_block_dim_equals_one_kernelILj256EllEEvT1_21rocsparse_index_base_PKT0_S2_PS3_S6_.has_recursion, 0
	.set _ZN9rocsparseL39csr2bsr_nnz_block_dim_equals_one_kernelILj256EllEEvT1_21rocsparse_index_base_PKT0_S2_PS3_S6_.has_indirect_call, 0
	.section	.AMDGPU.csdata,"",@progbits
; Kernel info:
; codeLenInByte = 276
; TotalNumSgprs: 13
; NumVgprs: 5
; ScratchSize: 0
; MemoryBound: 1
; FloatMode: 240
; IeeeMode: 1
; LDSByteSize: 0 bytes/workgroup (compile time only)
; SGPRBlocks: 0
; VGPRBlocks: 0
; NumSGPRsForWavesPerEU: 13
; NumVGPRsForWavesPerEU: 5
; Occupancy: 16
; WaveLimiterHint : 0
; COMPUTE_PGM_RSRC2:SCRATCH_EN: 0
; COMPUTE_PGM_RSRC2:USER_SGPR: 6
; COMPUTE_PGM_RSRC2:TRAP_HANDLER: 0
; COMPUTE_PGM_RSRC2:TGID_X_EN: 1
; COMPUTE_PGM_RSRC2:TGID_Y_EN: 0
; COMPUTE_PGM_RSRC2:TGID_Z_EN: 0
; COMPUTE_PGM_RSRC2:TIDIG_COMP_CNT: 0
	.section	.text._ZN9rocsparseL39csr2bsr_nnz_block_dim_equals_one_kernelILj256EllEEvT1_21rocsparse_index_base_PKT0_S2_PS3_,"axG",@progbits,_ZN9rocsparseL39csr2bsr_nnz_block_dim_equals_one_kernelILj256EllEEvT1_21rocsparse_index_base_PKT0_S2_PS3_,comdat
	.globl	_ZN9rocsparseL39csr2bsr_nnz_block_dim_equals_one_kernelILj256EllEEvT1_21rocsparse_index_base_PKT0_S2_PS3_ ; -- Begin function _ZN9rocsparseL39csr2bsr_nnz_block_dim_equals_one_kernelILj256EllEEvT1_21rocsparse_index_base_PKT0_S2_PS3_
	.p2align	8
	.type	_ZN9rocsparseL39csr2bsr_nnz_block_dim_equals_one_kernelILj256EllEEvT1_21rocsparse_index_base_PKT0_S2_PS3_,@function
_ZN9rocsparseL39csr2bsr_nnz_block_dim_equals_one_kernelILj256EllEEvT1_21rocsparse_index_base_PKT0_S2_PS3_: ; @_ZN9rocsparseL39csr2bsr_nnz_block_dim_equals_one_kernelILj256EllEEvT1_21rocsparse_index_base_PKT0_S2_PS3_
; %bb.0:
	s_load_dwordx2 s[0:1], s[4:5], 0x0
	v_lshl_or_b32 v0, s6, 8, v0
	v_mov_b32_e32 v1, 0
	s_waitcnt lgkmcnt(0)
	v_cmp_ge_i64_e32 vcc_lo, s[0:1], v[0:1]
	s_and_saveexec_b32 s0, vcc_lo
	s_cbranch_execz .LBB34_2
; %bb.1:
	s_load_dwordx2 s[0:1], s[4:5], 0x10
	v_lshlrev_b64 v[0:1], 3, v[0:1]
	s_clause 0x1
	s_load_dword s2, s[4:5], 0x18
	s_load_dword s3, s[4:5], 0x8
	s_waitcnt lgkmcnt(0)
	v_add_co_u32 v2, vcc_lo, s0, v0
	v_add_co_ci_u32_e64 v3, null, s1, v1, vcc_lo
	s_load_dwordx2 s[0:1], s[4:5], 0x20
	global_load_dwordx2 v[2:3], v[2:3], off
	s_waitcnt lgkmcnt(0)
	v_add_co_u32 v0, vcc_lo, s0, v0
	s_sub_u32 s0, s2, s3
	v_add_co_ci_u32_e64 v1, null, s1, v1, vcc_lo
	s_subb_u32 s1, 0, 0
	s_waitcnt vmcnt(0)
	v_add_co_u32 v2, vcc_lo, s0, v2
	v_add_co_ci_u32_e64 v3, null, s1, v3, vcc_lo
	global_store_dwordx2 v[0:1], v[2:3], off
.LBB34_2:
	s_endpgm
	.section	.rodata,"a",@progbits
	.p2align	6, 0x0
	.amdhsa_kernel _ZN9rocsparseL39csr2bsr_nnz_block_dim_equals_one_kernelILj256EllEEvT1_21rocsparse_index_base_PKT0_S2_PS3_
		.amdhsa_group_segment_fixed_size 0
		.amdhsa_private_segment_fixed_size 0
		.amdhsa_kernarg_size 40
		.amdhsa_user_sgpr_count 6
		.amdhsa_user_sgpr_private_segment_buffer 1
		.amdhsa_user_sgpr_dispatch_ptr 0
		.amdhsa_user_sgpr_queue_ptr 0
		.amdhsa_user_sgpr_kernarg_segment_ptr 1
		.amdhsa_user_sgpr_dispatch_id 0
		.amdhsa_user_sgpr_flat_scratch_init 0
		.amdhsa_user_sgpr_private_segment_size 0
		.amdhsa_wavefront_size32 1
		.amdhsa_uses_dynamic_stack 0
		.amdhsa_system_sgpr_private_segment_wavefront_offset 0
		.amdhsa_system_sgpr_workgroup_id_x 1
		.amdhsa_system_sgpr_workgroup_id_y 0
		.amdhsa_system_sgpr_workgroup_id_z 0
		.amdhsa_system_sgpr_workgroup_info 0
		.amdhsa_system_vgpr_workitem_id 0
		.amdhsa_next_free_vgpr 4
		.amdhsa_next_free_sgpr 7
		.amdhsa_reserve_vcc 1
		.amdhsa_reserve_flat_scratch 0
		.amdhsa_float_round_mode_32 0
		.amdhsa_float_round_mode_16_64 0
		.amdhsa_float_denorm_mode_32 3
		.amdhsa_float_denorm_mode_16_64 3
		.amdhsa_dx10_clamp 1
		.amdhsa_ieee_mode 1
		.amdhsa_fp16_overflow 0
		.amdhsa_workgroup_processor_mode 1
		.amdhsa_memory_ordered 1
		.amdhsa_forward_progress 1
		.amdhsa_shared_vgpr_count 0
		.amdhsa_exception_fp_ieee_invalid_op 0
		.amdhsa_exception_fp_denorm_src 0
		.amdhsa_exception_fp_ieee_div_zero 0
		.amdhsa_exception_fp_ieee_overflow 0
		.amdhsa_exception_fp_ieee_underflow 0
		.amdhsa_exception_fp_ieee_inexact 0
		.amdhsa_exception_int_div_zero 0
	.end_amdhsa_kernel
	.section	.text._ZN9rocsparseL39csr2bsr_nnz_block_dim_equals_one_kernelILj256EllEEvT1_21rocsparse_index_base_PKT0_S2_PS3_,"axG",@progbits,_ZN9rocsparseL39csr2bsr_nnz_block_dim_equals_one_kernelILj256EllEEvT1_21rocsparse_index_base_PKT0_S2_PS3_,comdat
.Lfunc_end34:
	.size	_ZN9rocsparseL39csr2bsr_nnz_block_dim_equals_one_kernelILj256EllEEvT1_21rocsparse_index_base_PKT0_S2_PS3_, .Lfunc_end34-_ZN9rocsparseL39csr2bsr_nnz_block_dim_equals_one_kernelILj256EllEEvT1_21rocsparse_index_base_PKT0_S2_PS3_
                                        ; -- End function
	.set _ZN9rocsparseL39csr2bsr_nnz_block_dim_equals_one_kernelILj256EllEEvT1_21rocsparse_index_base_PKT0_S2_PS3_.num_vgpr, 4
	.set _ZN9rocsparseL39csr2bsr_nnz_block_dim_equals_one_kernelILj256EllEEvT1_21rocsparse_index_base_PKT0_S2_PS3_.num_agpr, 0
	.set _ZN9rocsparseL39csr2bsr_nnz_block_dim_equals_one_kernelILj256EllEEvT1_21rocsparse_index_base_PKT0_S2_PS3_.numbered_sgpr, 7
	.set _ZN9rocsparseL39csr2bsr_nnz_block_dim_equals_one_kernelILj256EllEEvT1_21rocsparse_index_base_PKT0_S2_PS3_.num_named_barrier, 0
	.set _ZN9rocsparseL39csr2bsr_nnz_block_dim_equals_one_kernelILj256EllEEvT1_21rocsparse_index_base_PKT0_S2_PS3_.private_seg_size, 0
	.set _ZN9rocsparseL39csr2bsr_nnz_block_dim_equals_one_kernelILj256EllEEvT1_21rocsparse_index_base_PKT0_S2_PS3_.uses_vcc, 1
	.set _ZN9rocsparseL39csr2bsr_nnz_block_dim_equals_one_kernelILj256EllEEvT1_21rocsparse_index_base_PKT0_S2_PS3_.uses_flat_scratch, 0
	.set _ZN9rocsparseL39csr2bsr_nnz_block_dim_equals_one_kernelILj256EllEEvT1_21rocsparse_index_base_PKT0_S2_PS3_.has_dyn_sized_stack, 0
	.set _ZN9rocsparseL39csr2bsr_nnz_block_dim_equals_one_kernelILj256EllEEvT1_21rocsparse_index_base_PKT0_S2_PS3_.has_recursion, 0
	.set _ZN9rocsparseL39csr2bsr_nnz_block_dim_equals_one_kernelILj256EllEEvT1_21rocsparse_index_base_PKT0_S2_PS3_.has_indirect_call, 0
	.section	.AMDGPU.csdata,"",@progbits
; Kernel info:
; codeLenInByte = 168
; TotalNumSgprs: 9
; NumVgprs: 4
; ScratchSize: 0
; MemoryBound: 0
; FloatMode: 240
; IeeeMode: 1
; LDSByteSize: 0 bytes/workgroup (compile time only)
; SGPRBlocks: 0
; VGPRBlocks: 0
; NumSGPRsForWavesPerEU: 9
; NumVGPRsForWavesPerEU: 4
; Occupancy: 16
; WaveLimiterHint : 0
; COMPUTE_PGM_RSRC2:SCRATCH_EN: 0
; COMPUTE_PGM_RSRC2:USER_SGPR: 6
; COMPUTE_PGM_RSRC2:TRAP_HANDLER: 0
; COMPUTE_PGM_RSRC2:TGID_X_EN: 1
; COMPUTE_PGM_RSRC2:TGID_Y_EN: 0
; COMPUTE_PGM_RSRC2:TGID_Z_EN: 0
; COMPUTE_PGM_RSRC2:TIDIG_COMP_CNT: 0
	.section	.text._ZN9rocsparseL46csr2bsr_nnz_wavefront_per_row_multipass_kernelILj256ELj16ELj4EllEEvT3_S1_S1_S1_S1_21rocsparse_index_base_PKT2_PKS1_S2_PS3_,"axG",@progbits,_ZN9rocsparseL46csr2bsr_nnz_wavefront_per_row_multipass_kernelILj256ELj16ELj4EllEEvT3_S1_S1_S1_S1_21rocsparse_index_base_PKT2_PKS1_S2_PS3_,comdat
	.globl	_ZN9rocsparseL46csr2bsr_nnz_wavefront_per_row_multipass_kernelILj256ELj16ELj4EllEEvT3_S1_S1_S1_S1_21rocsparse_index_base_PKT2_PKS1_S2_PS3_ ; -- Begin function _ZN9rocsparseL46csr2bsr_nnz_wavefront_per_row_multipass_kernelILj256ELj16ELj4EllEEvT3_S1_S1_S1_S1_21rocsparse_index_base_PKT2_PKS1_S2_PS3_
	.p2align	8
	.type	_ZN9rocsparseL46csr2bsr_nnz_wavefront_per_row_multipass_kernelILj256ELj16ELj4EllEEvT3_S1_S1_S1_S1_21rocsparse_index_base_PKT2_PKS1_S2_PS3_,@function
_ZN9rocsparseL46csr2bsr_nnz_wavefront_per_row_multipass_kernelILj256ELj16ELj4EllEEvT3_S1_S1_S1_S1_21rocsparse_index_base_PKT2_PKS1_S2_PS3_: ; @_ZN9rocsparseL46csr2bsr_nnz_wavefront_per_row_multipass_kernelILj256ELj16ELj4EllEEvT3_S1_S1_S1_S1_21rocsparse_index_base_PKT2_PKS1_S2_PS3_
; %bb.0:
	s_load_dwordx2 s[2:3], s[4:5], 0x20
	v_lshrrev_b32_e32 v17, 4, v0
	s_ashr_i32 s7, s6, 31
	s_clause 0x1
	s_load_dwordx2 s[14:15], s[4:5], 0x0
	s_load_dwordx4 s[8:11], s[4:5], 0x10
	s_lshl_b64 s[0:1], s[6:7], 4
	v_mov_b32_e32 v2, 0
	v_or_b32_e32 v3, s0, v17
	v_bfe_u32 v1, v0, 2, 2
	s_clause 0x1
	s_load_dword s7, s[4:5], 0x28
	s_load_dwordx2 s[12:13], s[4:5], 0x30
	v_mov_b32_e32 v9, 0
	v_mov_b32_e32 v6, v2
	v_lshlrev_b32_e32 v18, 3, v17
	v_mov_b32_e32 v10, 0
	s_waitcnt lgkmcnt(0)
	v_mul_lo_u32 v5, v3, s3
	v_mad_u64_u32 v[3:4], null, v3, s2, v[1:2]
	s_mul_i32 s0, s1, s2
	v_add3_u32 v4, s0, v4, v5
	v_cmp_gt_i64_e64 s0, s[2:3], v[1:2]
	v_mov_b32_e32 v5, v2
	v_mov_b32_e32 v1, 0
	;; [unrolled: 1-line block ×3, first 2 shown]
	v_cmp_gt_i64_e32 vcc_lo, s[14:15], v[3:4]
	ds_write_b64 v18, v[5:6]
	s_waitcnt lgkmcnt(0)
	s_barrier
	buffer_gl0_inv
	s_and_b32 s0, s0, vcc_lo
	s_and_saveexec_b32 s1, s0
	s_cbranch_execz .LBB35_2
; %bb.1:
	v_lshlrev_b64 v[5:6], 3, v[3:4]
	v_add_co_u32 v5, vcc_lo, s12, v5
	v_add_co_ci_u32_e64 v6, null, s13, v6, vcc_lo
	global_load_dwordx2 v[5:6], v[5:6], off
	s_waitcnt vmcnt(0)
	v_sub_co_u32 v9, vcc_lo, v5, s7
	v_subrev_co_ci_u32_e64 v10, null, 0, v6, vcc_lo
.LBB35_2:
	s_or_b32 exec_lo, exec_lo, s1
	s_and_saveexec_b32 s1, s0
	s_cbranch_execz .LBB35_4
; %bb.3:
	v_lshlrev_b64 v[1:2], 3, v[3:4]
	v_add_co_u32 v1, vcc_lo, s12, v1
	v_add_co_ci_u32_e64 v2, null, s13, v2, vcc_lo
	global_load_dwordx2 v[1:2], v[1:2], off offset:8
	s_waitcnt vmcnt(0)
	v_sub_co_u32 v1, vcc_lo, v1, s7
	v_subrev_co_ci_u32_e64 v2, null, 0, v2, vcc_lo
.LBB35_4:
	s_or_b32 exec_lo, exec_lo, s1
	v_cmp_lt_i64_e64 s0, s[10:11], 1
	v_and_b32_e32 v19, 15, v0
	s_and_b32 vcc_lo, exec_lo, s0
	v_cmp_eq_u32_e64 s0, 0, v19
	s_cbranch_vccnz .LBB35_22
; %bb.5:
	v_mbcnt_lo_u32_b32 v4, -1, 0
	s_load_dwordx2 s[12:13], s[4:5], 0x38
	v_and_b32_e32 v0, 3, v0
	v_mov_b32_e32 v3, 0
	v_mov_b32_e32 v26, 1
	v_xor_b32_e32 v5, 2, v4
	v_xor_b32_e32 v6, 1, v4
	;; [unrolled: 1-line block ×4, first 2 shown]
	v_lshlrev_b32_e32 v11, 2, v4
	v_cmp_gt_i32_e32 vcc_lo, 32, v5
	s_mov_b32 s18, 0
	s_ashr_i32 s14, s3, 31
	s_sub_i32 s19, 0, s2
	v_or_b32_e32 v22, 12, v11
	v_cndmask_b32_e32 v5, v4, v5, vcc_lo
	v_cmp_gt_i32_e32 vcc_lo, 32, v6
	v_or_b32_e32 v25, 60, v11
	v_lshlrev_b32_e32 v20, 2, v5
	v_cndmask_b32_e32 v6, v4, v6, vcc_lo
	v_cmp_gt_i32_e32 vcc_lo, 32, v7
	v_lshlrev_b32_e32 v21, 2, v6
	v_cndmask_b32_e32 v7, v4, v7, vcc_lo
	v_cmp_gt_i32_e32 vcc_lo, 32, v8
	v_lshlrev_b32_e32 v23, 2, v7
	v_cndmask_b32_e32 v4, v4, v8, vcc_lo
	v_mov_b32_e32 v7, 0
	v_mov_b32_e32 v8, 0
	v_lshlrev_b32_e32 v24, 2, v4
	s_branch .LBB35_7
.LBB35_6:                               ;   in Loop: Header=BB35_7 Depth=1
	s_or_b32 exec_lo, exec_lo, s1
	ds_bpermute_b32 v7, v23, v5
	ds_bpermute_b32 v8, v23, v6
	s_waitcnt lgkmcnt(0)
	buffer_gl0_inv
	v_cmp_lt_i64_e32 vcc_lo, v[7:8], v[5:6]
	v_cndmask_b32_e32 v6, v6, v8, vcc_lo
	v_cndmask_b32_e32 v5, v5, v7, vcc_lo
	ds_bpermute_b32 v8, v24, v6
	ds_bpermute_b32 v7, v24, v5
	s_waitcnt lgkmcnt(0)
	v_cmp_lt_i64_e32 vcc_lo, v[7:8], v[5:6]
	v_cndmask_b32_e32 v6, v6, v8, vcc_lo
	v_cndmask_b32_e32 v5, v5, v7, vcc_lo
	ds_bpermute_b32 v8, v20, v6
	ds_bpermute_b32 v7, v20, v5
	s_waitcnt lgkmcnt(0)
	;; [unrolled: 6-line block ×4, first 2 shown]
	v_cmp_le_i64_e32 vcc_lo, s[10:11], v[7:8]
	s_or_b32 s18, vcc_lo, s18
	s_andn2_b32 exec_lo, exec_lo, s18
	s_cbranch_execz .LBB35_21
.LBB35_7:                               ; =>This Loop Header: Depth=1
                                        ;     Child Loop BB35_10 Depth 2
	v_add_co_u32 v9, vcc_lo, v9, v0
	v_mov_b32_e32 v5, s10
	v_mov_b32_e32 v16, v2
	v_add_co_ci_u32_e64 v10, null, 0, v10, vcc_lo
	v_mov_b32_e32 v6, s11
	v_mov_b32_e32 v15, v1
	s_mov_b32 s20, exec_lo
	ds_write_b8 v17, v3 offset:128
	s_waitcnt lgkmcnt(0)
	buffer_gl0_inv
	v_cmpx_lt_i64_e64 v[9:10], v[1:2]
	s_cbranch_execz .LBB35_19
; %bb.8:                                ;   in Loop: Header=BB35_7 Depth=1
	v_lshlrev_b64 v[11:12], 3, v[9:10]
	v_mov_b32_e32 v5, s10
	v_mov_b32_e32 v14, v2
	;; [unrolled: 1-line block ×4, first 2 shown]
	s_mov_b32 s21, 0
	v_add_co_u32 v11, vcc_lo, s12, v11
	v_add_co_ci_u32_e64 v12, null, s13, v12, vcc_lo
	s_branch .LBB35_10
.LBB35_9:                               ;   in Loop: Header=BB35_10 Depth=2
	s_or_b32 exec_lo, exec_lo, s1
	v_add_co_u32 v9, s1, v9, 4
	v_add_co_ci_u32_e64 v10, null, 0, v10, s1
	s_xor_b32 s15, vcc_lo, -1
	v_add_co_u32 v11, vcc_lo, v11, 32
	v_cmp_ge_i64_e64 s1, v[9:10], v[1:2]
	v_mov_b32_e32 v13, v15
	v_add_co_ci_u32_e64 v12, null, 0, v12, vcc_lo
	v_mov_b32_e32 v14, v16
	s_or_b32 s1, s15, s1
	s_and_b32 s1, exec_lo, s1
	s_or_b32 s21, s1, s21
	s_andn2_b32 exec_lo, exec_lo, s21
	s_cbranch_execz .LBB35_18
.LBB35_10:                              ;   Parent Loop BB35_7 Depth=1
                                        ; =>  This Inner Loop Header: Depth=2
	global_load_dwordx2 v[15:16], v[11:12], off
	s_mov_b32 s1, exec_lo
	s_waitcnt vmcnt(0)
	v_sub_co_u32 v27, vcc_lo, v15, s7
	v_subrev_co_ci_u32_e64 v28, null, 0, v16, vcc_lo
                                        ; implicit-def: $vgpr15_vgpr16
	v_or_b32_e32 v4, s3, v28
	v_cmpx_ne_u64_e32 0, v[3:4]
	s_xor_b32 s22, exec_lo, s1
	s_cbranch_execz .LBB35_12
; %bb.11:                               ;   in Loop: Header=BB35_10 Depth=2
	s_add_u32 s16, s2, s14
	s_mov_b32 s15, s14
	s_addc_u32 s17, s3, s14
	v_ashrrev_i32_e32 v31, 31, v28
	s_xor_b64 s[16:17], s[16:17], s[14:15]
	v_cvt_f32_u32_e32 v4, s16
	v_cvt_f32_u32_e32 v15, s17
	s_sub_u32 s1, 0, s16
	s_subb_u32 s24, 0, s17
	v_add_co_u32 v16, vcc_lo, v27, v31
	v_fmac_f32_e32 v4, 0x4f800000, v15
	v_xor_b32_e32 v32, v16, v31
	v_rcp_f32_e32 v4, v4
	v_mul_f32_e32 v4, 0x5f7ffffc, v4
	v_mul_f32_e32 v15, 0x2f800000, v4
	v_trunc_f32_e32 v15, v15
	v_fmac_f32_e32 v4, 0xcf800000, v15
	v_cvt_u32_f32_e32 v15, v15
	v_cvt_u32_f32_e32 v4, v4
	v_readfirstlane_b32 s15, v15
	v_readfirstlane_b32 s23, v4
	s_mul_i32 s25, s1, s15
	v_add_co_ci_u32_e64 v4, null, v28, v31, vcc_lo
	s_mul_hi_u32 s27, s1, s23
	s_mul_i32 s26, s24, s23
	s_add_i32 s25, s27, s25
	s_mul_i32 s28, s1, s23
	s_add_i32 s25, s25, s26
	s_mul_hi_u32 s27, s23, s28
	s_mul_i32 s30, s23, s25
	s_mul_hi_u32 s29, s15, s28
	s_mul_i32 s26, s15, s28
	s_mul_hi_u32 s28, s23, s25
	s_add_u32 s27, s27, s30
	s_addc_u32 s28, 0, s28
	s_mul_hi_u32 s31, s15, s25
	s_add_u32 s26, s27, s26
	s_mul_i32 s25, s15, s25
	s_addc_u32 s26, s28, s29
	s_addc_u32 s27, s31, 0
	s_add_u32 s25, s26, s25
	s_addc_u32 s26, 0, s27
	s_add_u32 s23, s23, s25
	s_cselect_b32 s25, -1, 0
	s_mul_hi_u32 s27, s1, s23
	s_cmp_lg_u32 s25, 0
	s_mul_i32 s25, s1, s23
	s_addc_u32 s15, s15, s26
	s_mul_i32 s24, s24, s23
	s_mul_i32 s1, s1, s15
	s_mul_hi_u32 s26, s23, s25
	s_add_i32 s1, s27, s1
	s_mul_hi_u32 s27, s15, s25
	s_add_i32 s1, s1, s24
	s_mul_i32 s24, s15, s25
	s_mul_i32 s29, s23, s1
	s_mul_hi_u32 s28, s23, s1
	s_add_u32 s26, s26, s29
	s_addc_u32 s28, 0, s28
	s_mul_hi_u32 s25, s15, s1
	s_add_u32 s24, s26, s24
	s_mul_i32 s1, s15, s1
	s_addc_u32 s24, s28, s27
	s_addc_u32 s25, s25, 0
	s_add_u32 s1, s24, s1
	s_addc_u32 s24, 0, s25
	s_add_u32 s1, s23, s1
	s_cselect_b32 s23, -1, 0
	v_xor_b32_e32 v4, v4, v31
	s_cmp_lg_u32 s23, 0
	v_mul_hi_u32 v33, v32, s1
	s_addc_u32 s15, s15, s24
	v_mad_u64_u32 v[15:16], null, v32, s15, 0
	v_mad_u64_u32 v[27:28], null, v4, s1, 0
	;; [unrolled: 1-line block ×3, first 2 shown]
	v_add_co_u32 v15, vcc_lo, v33, v15
	v_add_co_ci_u32_e64 v16, null, 0, v16, vcc_lo
	v_add_co_u32 v15, vcc_lo, v15, v27
	v_add_co_ci_u32_e32 v15, vcc_lo, v16, v28, vcc_lo
	v_add_co_ci_u32_e32 v16, vcc_lo, 0, v30, vcc_lo
	v_add_co_u32 v27, vcc_lo, v15, v29
	v_add_co_ci_u32_e64 v28, null, 0, v16, vcc_lo
	v_mul_lo_u32 v29, s17, v27
	v_mad_u64_u32 v[15:16], null, s16, v27, 0
	v_mul_lo_u32 v30, s16, v28
	v_sub_co_u32 v15, vcc_lo, v32, v15
	v_add3_u32 v16, v16, v30, v29
	v_add_co_u32 v30, s1, v27, 2
	v_add_co_ci_u32_e64 v32, null, 0, v28, s1
	v_sub_nc_u32_e32 v29, v4, v16
	v_sub_co_u32 v33, s1, v15, s16
	v_sub_co_ci_u32_e64 v4, null, v4, v16, vcc_lo
	v_subrev_co_ci_u32_e64 v29, null, s17, v29, vcc_lo
	v_cmp_le_u32_e32 vcc_lo, s16, v33
	v_subrev_co_ci_u32_e64 v29, null, 0, v29, s1
	v_cndmask_b32_e64 v16, 0, -1, vcc_lo
	v_cmp_le_u32_e32 vcc_lo, s17, v29
	v_cndmask_b32_e64 v33, 0, -1, vcc_lo
	v_cmp_le_u32_e32 vcc_lo, s16, v15
	;; [unrolled: 2-line block ×3, first 2 shown]
	v_cndmask_b32_e64 v34, 0, -1, vcc_lo
	v_cmp_eq_u32_e32 vcc_lo, s17, v29
	v_cndmask_b32_e32 v16, v33, v16, vcc_lo
	v_add_co_u32 v29, vcc_lo, v27, 1
	v_add_co_ci_u32_e64 v33, null, 0, v28, vcc_lo
	v_cmp_eq_u32_e32 vcc_lo, s17, v4
	v_cndmask_b32_e32 v4, v34, v15, vcc_lo
	v_cmp_ne_u32_e32 vcc_lo, 0, v16
	v_xor_b32_e32 v16, s14, v31
	v_cmp_ne_u32_e64 s1, 0, v4
	v_cndmask_b32_e32 v4, v29, v30, vcc_lo
	v_cndmask_b32_e32 v15, v33, v32, vcc_lo
	v_cndmask_b32_e64 v4, v27, v4, s1
	v_cndmask_b32_e64 v15, v28, v15, s1
	v_xor_b32_e32 v4, v4, v16
	v_xor_b32_e32 v27, v15, v16
	v_sub_co_u32 v15, vcc_lo, v4, v16
	v_sub_co_ci_u32_e64 v16, null, v27, v16, vcc_lo
                                        ; implicit-def: $vgpr27
.LBB35_12:                              ;   in Loop: Header=BB35_10 Depth=2
	s_andn2_saveexec_b32 s1, s22
	s_cbranch_execz .LBB35_14
; %bb.13:                               ;   in Loop: Header=BB35_10 Depth=2
	v_cvt_f32_u32_e32 v4, s2
	v_rcp_iflag_f32_e32 v4, v4
	v_mul_f32_e32 v4, 0x4f7ffffe, v4
	v_cvt_u32_f32_e32 v4, v4
	v_mul_lo_u32 v15, s19, v4
	v_mul_hi_u32 v15, v4, v15
	v_add_nc_u32_e32 v4, v4, v15
	v_mul_hi_u32 v4, v27, v4
	v_mul_lo_u32 v15, v4, s2
	v_add_nc_u32_e32 v16, 1, v4
	v_sub_nc_u32_e32 v15, v27, v15
	v_subrev_nc_u32_e32 v27, s2, v15
	v_cmp_le_u32_e32 vcc_lo, s2, v15
	v_cndmask_b32_e32 v15, v15, v27, vcc_lo
	v_cndmask_b32_e32 v4, v4, v16, vcc_lo
	v_cmp_le_u32_e32 vcc_lo, s2, v15
	v_add_nc_u32_e32 v16, 1, v4
	v_cndmask_b32_e32 v15, v4, v16, vcc_lo
	v_mov_b32_e32 v16, v3
.LBB35_14:                              ;   in Loop: Header=BB35_10 Depth=2
	s_or_b32 exec_lo, exec_lo, s1
	s_mov_b32 s15, exec_lo
	v_cmp_eq_u64_e32 vcc_lo, v[15:16], v[7:8]
	v_cmpx_ne_u64_e64 v[15:16], v[7:8]
	s_xor_b32 s15, exec_lo, s15
; %bb.15:                               ;   in Loop: Header=BB35_10 Depth=2
	v_cmp_lt_i64_e64 s1, v[15:16], v[5:6]
                                        ; implicit-def: $vgpr13_vgpr14
	v_cndmask_b32_e64 v6, v6, v16, s1
	v_cndmask_b32_e64 v5, v5, v15, s1
; %bb.16:                               ;   in Loop: Header=BB35_10 Depth=2
	s_or_saveexec_b32 s1, s15
	v_mov_b32_e32 v16, v10
	v_mov_b32_e32 v15, v9
	s_xor_b32 exec_lo, exec_lo, s1
	s_cbranch_execz .LBB35_9
; %bb.17:                               ;   in Loop: Header=BB35_10 Depth=2
	v_mov_b32_e32 v16, v14
	v_mov_b32_e32 v15, v13
	ds_write_b8 v17, v26 offset:128
	s_branch .LBB35_9
.LBB35_18:                              ;   in Loop: Header=BB35_7 Depth=1
	s_or_b32 exec_lo, exec_lo, s21
.LBB35_19:                              ;   in Loop: Header=BB35_7 Depth=1
	s_or_b32 exec_lo, exec_lo, s20
	ds_bpermute_b32 v7, v20, v15
	ds_bpermute_b32 v8, v20, v16
	s_waitcnt lgkmcnt(0)
	buffer_gl0_inv
	ds_read_u8 v4, v17 offset:128
	v_cmp_lt_i64_e32 vcc_lo, v[7:8], v[15:16]
	s_waitcnt lgkmcnt(0)
	v_and_b32_e32 v4, 1, v4
	v_cndmask_b32_e32 v8, v16, v8, vcc_lo
	v_cndmask_b32_e32 v7, v15, v7, vcc_lo
	ds_bpermute_b32 v10, v21, v8
	ds_bpermute_b32 v9, v21, v7
	s_waitcnt lgkmcnt(0)
	v_cmp_lt_i64_e32 vcc_lo, v[9:10], v[7:8]
	v_cndmask_b32_e32 v8, v8, v10, vcc_lo
	v_cndmask_b32_e32 v7, v7, v9, vcc_lo
	v_cmp_eq_u32_e32 vcc_lo, 1, v4
	ds_bpermute_b32 v10, v22, v8
	ds_bpermute_b32 v9, v22, v7
	s_and_b32 s15, s0, vcc_lo
	s_and_saveexec_b32 s1, s15
	s_cbranch_execz .LBB35_6
; %bb.20:                               ;   in Loop: Header=BB35_7 Depth=1
	ds_read_b64 v[7:8], v18
	s_waitcnt lgkmcnt(0)
	v_add_co_u32 v7, vcc_lo, v7, 1
	v_add_co_ci_u32_e64 v8, null, 0, v8, vcc_lo
	ds_write_b64 v18, v[7:8]
	s_branch .LBB35_6
.LBB35_21:
	s_or_b32 exec_lo, exec_lo, s18
.LBB35_22:
	s_mov_b32 s0, exec_lo
	v_cmpx_eq_u32_e32 0, v19
	s_cbranch_execz .LBB35_25
; %bb.23:
	s_clause 0x1
	s_load_dword s2, s[4:5], 0x40
	s_load_dwordx2 s[0:1], s[4:5], 0x48
	v_mov_b32_e32 v1, 0
	s_waitcnt lgkmcnt(0)
	v_mov_b32_e32 v0, s2
	global_store_dwordx2 v1, v[0:1], s[0:1]
	v_lshl_or_b32 v0, s6, 4, v17
	v_cmp_gt_i64_e32 vcc_lo, s[8:9], v[0:1]
	s_and_b32 exec_lo, exec_lo, vcc_lo
	s_cbranch_execz .LBB35_25
; %bb.24:
	ds_read_b64 v[2:3], v18
	v_add_nc_u32_e32 v0, 1, v0
	v_lshlrev_b64 v[0:1], 3, v[0:1]
	v_add_co_u32 v0, vcc_lo, s0, v0
	v_add_co_ci_u32_e64 v1, null, s1, v1, vcc_lo
	s_waitcnt lgkmcnt(0)
	global_store_dwordx2 v[0:1], v[2:3], off
.LBB35_25:
	s_endpgm
	.section	.rodata,"a",@progbits
	.p2align	6, 0x0
	.amdhsa_kernel _ZN9rocsparseL46csr2bsr_nnz_wavefront_per_row_multipass_kernelILj256ELj16ELj4EllEEvT3_S1_S1_S1_S1_21rocsparse_index_base_PKT2_PKS1_S2_PS3_
		.amdhsa_group_segment_fixed_size 144
		.amdhsa_private_segment_fixed_size 0
		.amdhsa_kernarg_size 80
		.amdhsa_user_sgpr_count 6
		.amdhsa_user_sgpr_private_segment_buffer 1
		.amdhsa_user_sgpr_dispatch_ptr 0
		.amdhsa_user_sgpr_queue_ptr 0
		.amdhsa_user_sgpr_kernarg_segment_ptr 1
		.amdhsa_user_sgpr_dispatch_id 0
		.amdhsa_user_sgpr_flat_scratch_init 0
		.amdhsa_user_sgpr_private_segment_size 0
		.amdhsa_wavefront_size32 1
		.amdhsa_uses_dynamic_stack 0
		.amdhsa_system_sgpr_private_segment_wavefront_offset 0
		.amdhsa_system_sgpr_workgroup_id_x 1
		.amdhsa_system_sgpr_workgroup_id_y 0
		.amdhsa_system_sgpr_workgroup_id_z 0
		.amdhsa_system_sgpr_workgroup_info 0
		.amdhsa_system_vgpr_workitem_id 0
		.amdhsa_next_free_vgpr 35
		.amdhsa_next_free_sgpr 32
		.amdhsa_reserve_vcc 1
		.amdhsa_reserve_flat_scratch 0
		.amdhsa_float_round_mode_32 0
		.amdhsa_float_round_mode_16_64 0
		.amdhsa_float_denorm_mode_32 3
		.amdhsa_float_denorm_mode_16_64 3
		.amdhsa_dx10_clamp 1
		.amdhsa_ieee_mode 1
		.amdhsa_fp16_overflow 0
		.amdhsa_workgroup_processor_mode 1
		.amdhsa_memory_ordered 1
		.amdhsa_forward_progress 1
		.amdhsa_shared_vgpr_count 0
		.amdhsa_exception_fp_ieee_invalid_op 0
		.amdhsa_exception_fp_denorm_src 0
		.amdhsa_exception_fp_ieee_div_zero 0
		.amdhsa_exception_fp_ieee_overflow 0
		.amdhsa_exception_fp_ieee_underflow 0
		.amdhsa_exception_fp_ieee_inexact 0
		.amdhsa_exception_int_div_zero 0
	.end_amdhsa_kernel
	.section	.text._ZN9rocsparseL46csr2bsr_nnz_wavefront_per_row_multipass_kernelILj256ELj16ELj4EllEEvT3_S1_S1_S1_S1_21rocsparse_index_base_PKT2_PKS1_S2_PS3_,"axG",@progbits,_ZN9rocsparseL46csr2bsr_nnz_wavefront_per_row_multipass_kernelILj256ELj16ELj4EllEEvT3_S1_S1_S1_S1_21rocsparse_index_base_PKT2_PKS1_S2_PS3_,comdat
.Lfunc_end35:
	.size	_ZN9rocsparseL46csr2bsr_nnz_wavefront_per_row_multipass_kernelILj256ELj16ELj4EllEEvT3_S1_S1_S1_S1_21rocsparse_index_base_PKT2_PKS1_S2_PS3_, .Lfunc_end35-_ZN9rocsparseL46csr2bsr_nnz_wavefront_per_row_multipass_kernelILj256ELj16ELj4EllEEvT3_S1_S1_S1_S1_21rocsparse_index_base_PKT2_PKS1_S2_PS3_
                                        ; -- End function
	.set _ZN9rocsparseL46csr2bsr_nnz_wavefront_per_row_multipass_kernelILj256ELj16ELj4EllEEvT3_S1_S1_S1_S1_21rocsparse_index_base_PKT2_PKS1_S2_PS3_.num_vgpr, 35
	.set _ZN9rocsparseL46csr2bsr_nnz_wavefront_per_row_multipass_kernelILj256ELj16ELj4EllEEvT3_S1_S1_S1_S1_21rocsparse_index_base_PKT2_PKS1_S2_PS3_.num_agpr, 0
	.set _ZN9rocsparseL46csr2bsr_nnz_wavefront_per_row_multipass_kernelILj256ELj16ELj4EllEEvT3_S1_S1_S1_S1_21rocsparse_index_base_PKT2_PKS1_S2_PS3_.numbered_sgpr, 32
	.set _ZN9rocsparseL46csr2bsr_nnz_wavefront_per_row_multipass_kernelILj256ELj16ELj4EllEEvT3_S1_S1_S1_S1_21rocsparse_index_base_PKT2_PKS1_S2_PS3_.num_named_barrier, 0
	.set _ZN9rocsparseL46csr2bsr_nnz_wavefront_per_row_multipass_kernelILj256ELj16ELj4EllEEvT3_S1_S1_S1_S1_21rocsparse_index_base_PKT2_PKS1_S2_PS3_.private_seg_size, 0
	.set _ZN9rocsparseL46csr2bsr_nnz_wavefront_per_row_multipass_kernelILj256ELj16ELj4EllEEvT3_S1_S1_S1_S1_21rocsparse_index_base_PKT2_PKS1_S2_PS3_.uses_vcc, 1
	.set _ZN9rocsparseL46csr2bsr_nnz_wavefront_per_row_multipass_kernelILj256ELj16ELj4EllEEvT3_S1_S1_S1_S1_21rocsparse_index_base_PKT2_PKS1_S2_PS3_.uses_flat_scratch, 0
	.set _ZN9rocsparseL46csr2bsr_nnz_wavefront_per_row_multipass_kernelILj256ELj16ELj4EllEEvT3_S1_S1_S1_S1_21rocsparse_index_base_PKT2_PKS1_S2_PS3_.has_dyn_sized_stack, 0
	.set _ZN9rocsparseL46csr2bsr_nnz_wavefront_per_row_multipass_kernelILj256ELj16ELj4EllEEvT3_S1_S1_S1_S1_21rocsparse_index_base_PKT2_PKS1_S2_PS3_.has_recursion, 0
	.set _ZN9rocsparseL46csr2bsr_nnz_wavefront_per_row_multipass_kernelILj256ELj16ELj4EllEEvT3_S1_S1_S1_S1_21rocsparse_index_base_PKT2_PKS1_S2_PS3_.has_indirect_call, 0
	.section	.AMDGPU.csdata,"",@progbits
; Kernel info:
; codeLenInByte = 1988
; TotalNumSgprs: 34
; NumVgprs: 35
; ScratchSize: 0
; MemoryBound: 0
; FloatMode: 240
; IeeeMode: 1
; LDSByteSize: 144 bytes/workgroup (compile time only)
; SGPRBlocks: 0
; VGPRBlocks: 4
; NumSGPRsForWavesPerEU: 34
; NumVGPRsForWavesPerEU: 35
; Occupancy: 16
; WaveLimiterHint : 0
; COMPUTE_PGM_RSRC2:SCRATCH_EN: 0
; COMPUTE_PGM_RSRC2:USER_SGPR: 6
; COMPUTE_PGM_RSRC2:TRAP_HANDLER: 0
; COMPUTE_PGM_RSRC2:TGID_X_EN: 1
; COMPUTE_PGM_RSRC2:TGID_Y_EN: 0
; COMPUTE_PGM_RSRC2:TGID_Z_EN: 0
; COMPUTE_PGM_RSRC2:TIDIG_COMP_CNT: 0
	.section	.text._ZN9rocsparseL46csr2bsr_nnz_wavefront_per_row_multipass_kernelILj256ELj64ELj8EllEEvT3_S1_S1_S1_S1_21rocsparse_index_base_PKT2_PKS1_S2_PS3_,"axG",@progbits,_ZN9rocsparseL46csr2bsr_nnz_wavefront_per_row_multipass_kernelILj256ELj64ELj8EllEEvT3_S1_S1_S1_S1_21rocsparse_index_base_PKT2_PKS1_S2_PS3_,comdat
	.globl	_ZN9rocsparseL46csr2bsr_nnz_wavefront_per_row_multipass_kernelILj256ELj64ELj8EllEEvT3_S1_S1_S1_S1_21rocsparse_index_base_PKT2_PKS1_S2_PS3_ ; -- Begin function _ZN9rocsparseL46csr2bsr_nnz_wavefront_per_row_multipass_kernelILj256ELj64ELj8EllEEvT3_S1_S1_S1_S1_21rocsparse_index_base_PKT2_PKS1_S2_PS3_
	.p2align	8
	.type	_ZN9rocsparseL46csr2bsr_nnz_wavefront_per_row_multipass_kernelILj256ELj64ELj8EllEEvT3_S1_S1_S1_S1_21rocsparse_index_base_PKT2_PKS1_S2_PS3_,@function
_ZN9rocsparseL46csr2bsr_nnz_wavefront_per_row_multipass_kernelILj256ELj64ELj8EllEEvT3_S1_S1_S1_S1_21rocsparse_index_base_PKT2_PKS1_S2_PS3_: ; @_ZN9rocsparseL46csr2bsr_nnz_wavefront_per_row_multipass_kernelILj256ELj64ELj8EllEEvT3_S1_S1_S1_S1_21rocsparse_index_base_PKT2_PKS1_S2_PS3_
; %bb.0:
	s_load_dwordx2 s[2:3], s[4:5], 0x20
	v_lshrrev_b32_e32 v17, 6, v0
	s_ashr_i32 s7, s6, 31
	s_clause 0x1
	s_load_dwordx2 s[14:15], s[4:5], 0x0
	s_load_dwordx4 s[8:11], s[4:5], 0x10
	s_lshl_b64 s[0:1], s[6:7], 2
	v_mov_b32_e32 v2, 0
	v_or_b32_e32 v3, s0, v17
	v_bfe_u32 v1, v0, 3, 3
	s_clause 0x1
	s_load_dword s7, s[4:5], 0x28
	s_load_dwordx2 s[12:13], s[4:5], 0x30
	v_mov_b32_e32 v9, 0
	v_mov_b32_e32 v6, v2
	v_lshlrev_b32_e32 v18, 3, v17
	v_mov_b32_e32 v10, 0
	s_waitcnt lgkmcnt(0)
	v_mul_lo_u32 v5, v3, s3
	v_mad_u64_u32 v[3:4], null, v3, s2, v[1:2]
	s_mul_i32 s0, s1, s2
	v_add3_u32 v4, s0, v4, v5
	v_cmp_gt_i64_e64 s0, s[2:3], v[1:2]
	v_mov_b32_e32 v5, v2
	v_mov_b32_e32 v1, 0
	;; [unrolled: 1-line block ×3, first 2 shown]
	v_cmp_gt_i64_e32 vcc_lo, s[14:15], v[3:4]
	ds_write_b64 v18, v[5:6]
	s_waitcnt lgkmcnt(0)
	s_barrier
	buffer_gl0_inv
	s_and_b32 s0, s0, vcc_lo
	s_and_saveexec_b32 s1, s0
	s_cbranch_execz .LBB36_2
; %bb.1:
	v_lshlrev_b64 v[5:6], 3, v[3:4]
	v_add_co_u32 v5, vcc_lo, s12, v5
	v_add_co_ci_u32_e64 v6, null, s13, v6, vcc_lo
	global_load_dwordx2 v[5:6], v[5:6], off
	s_waitcnt vmcnt(0)
	v_sub_co_u32 v9, vcc_lo, v5, s7
	v_subrev_co_ci_u32_e64 v10, null, 0, v6, vcc_lo
.LBB36_2:
	s_or_b32 exec_lo, exec_lo, s1
	s_and_saveexec_b32 s1, s0
	s_cbranch_execz .LBB36_4
; %bb.3:
	v_lshlrev_b64 v[1:2], 3, v[3:4]
	v_add_co_u32 v1, vcc_lo, s12, v1
	v_add_co_ci_u32_e64 v2, null, s13, v2, vcc_lo
	global_load_dwordx2 v[1:2], v[1:2], off offset:8
	s_waitcnt vmcnt(0)
	v_sub_co_u32 v1, vcc_lo, v1, s7
	v_subrev_co_ci_u32_e64 v2, null, 0, v2, vcc_lo
.LBB36_4:
	s_or_b32 exec_lo, exec_lo, s1
	v_cmp_lt_i64_e64 s0, s[10:11], 1
	v_and_b32_e32 v19, 63, v0
	s_and_b32 vcc_lo, exec_lo, s0
	v_cmp_eq_u32_e64 s0, 0, v19
	s_cbranch_vccnz .LBB36_22
; %bb.5:
	v_mbcnt_lo_u32_b32 v4, -1, 0
	s_load_dwordx2 s[12:13], s[4:5], 0x38
	v_and_b32_e32 v0, 7, v0
	v_mov_b32_e32 v3, 0
	v_bfrev_b32_e32 v27, 0.5
	v_xor_b32_e32 v5, 4, v4
	v_xor_b32_e32 v6, 2, v4
	;; [unrolled: 1-line block ×3, first 2 shown]
	v_or_b32_e32 v8, 32, v4
	v_xor_b32_e32 v11, 16, v4
	v_cmp_gt_i32_e32 vcc_lo, 32, v5
	v_lshl_or_b32 v23, v4, 2, 28
	v_mov_b32_e32 v28, 1
	s_mov_b32 s18, 0
	s_ashr_i32 s14, s3, 31
	v_cndmask_b32_e32 v5, v4, v5, vcc_lo
	v_cmp_gt_i32_e32 vcc_lo, 32, v6
	s_sub_i32 s19, 0, s2
	v_lshlrev_b32_e32 v20, 2, v5
	v_cndmask_b32_e32 v6, v4, v6, vcc_lo
	v_cmp_gt_i32_e32 vcc_lo, 32, v7
	v_lshlrev_b32_e32 v21, 2, v6
	v_cndmask_b32_e32 v5, v4, v7, vcc_lo
	v_cmp_gt_i32_e32 vcc_lo, 32, v8
	v_xor_b32_e32 v6, 8, v4
	v_lshlrev_b32_e32 v22, 2, v5
	v_cndmask_b32_e32 v7, v4, v8, vcc_lo
	v_cmp_gt_i32_e32 vcc_lo, 32, v11
	v_lshlrev_b32_e32 v24, 2, v7
	v_cndmask_b32_e32 v8, v4, v11, vcc_lo
	v_cmp_gt_i32_e32 vcc_lo, 32, v6
	v_lshlrev_b32_e32 v25, 2, v8
	v_cndmask_b32_e32 v6, v4, v6, vcc_lo
	v_mov_b32_e32 v7, 0
	v_mov_b32_e32 v8, 0
	v_lshlrev_b32_e32 v26, 2, v6
	s_branch .LBB36_7
.LBB36_6:                               ;   in Loop: Header=BB36_7 Depth=1
	s_or_b32 exec_lo, exec_lo, s1
	ds_bpermute_b32 v7, v24, v5
	ds_bpermute_b32 v8, v24, v6
	s_waitcnt lgkmcnt(0)
	buffer_gl0_inv
	v_cmp_lt_i64_e32 vcc_lo, v[7:8], v[5:6]
	v_cndmask_b32_e32 v6, v6, v8, vcc_lo
	v_cndmask_b32_e32 v5, v5, v7, vcc_lo
	ds_bpermute_b32 v8, v25, v6
	ds_bpermute_b32 v7, v25, v5
	s_waitcnt lgkmcnt(0)
	v_cmp_lt_i64_e32 vcc_lo, v[7:8], v[5:6]
	v_cndmask_b32_e32 v6, v6, v8, vcc_lo
	v_cndmask_b32_e32 v5, v5, v7, vcc_lo
	ds_bpermute_b32 v8, v26, v6
	ds_bpermute_b32 v7, v26, v5
	s_waitcnt lgkmcnt(0)
	;; [unrolled: 6-line block ×6, first 2 shown]
	v_cmp_le_i64_e32 vcc_lo, s[10:11], v[7:8]
	s_or_b32 s18, vcc_lo, s18
	s_andn2_b32 exec_lo, exec_lo, s18
	s_cbranch_execz .LBB36_21
.LBB36_7:                               ; =>This Loop Header: Depth=1
                                        ;     Child Loop BB36_10 Depth 2
	v_add_co_u32 v9, vcc_lo, v9, v0
	v_mov_b32_e32 v5, s10
	v_mov_b32_e32 v16, v2
	v_add_co_ci_u32_e64 v10, null, 0, v10, vcc_lo
	v_mov_b32_e32 v6, s11
	v_mov_b32_e32 v15, v1
	s_mov_b32 s20, exec_lo
	ds_write_b8 v17, v3 offset:32
	s_waitcnt lgkmcnt(0)
	buffer_gl0_inv
	v_cmpx_lt_i64_e64 v[9:10], v[1:2]
	s_cbranch_execz .LBB36_19
; %bb.8:                                ;   in Loop: Header=BB36_7 Depth=1
	v_lshlrev_b64 v[11:12], 3, v[9:10]
	v_mov_b32_e32 v5, s10
	v_mov_b32_e32 v14, v2
	;; [unrolled: 1-line block ×4, first 2 shown]
	s_mov_b32 s21, 0
	v_add_co_u32 v11, vcc_lo, s12, v11
	v_add_co_ci_u32_e64 v12, null, s13, v12, vcc_lo
	s_branch .LBB36_10
.LBB36_9:                               ;   in Loop: Header=BB36_10 Depth=2
	s_or_b32 exec_lo, exec_lo, s1
	v_add_co_u32 v9, s1, v9, 8
	v_add_co_ci_u32_e64 v10, null, 0, v10, s1
	s_xor_b32 s15, vcc_lo, -1
	v_add_co_u32 v11, vcc_lo, v11, 64
	v_cmp_ge_i64_e64 s1, v[9:10], v[1:2]
	v_mov_b32_e32 v13, v15
	v_add_co_ci_u32_e64 v12, null, 0, v12, vcc_lo
	v_mov_b32_e32 v14, v16
	s_or_b32 s1, s15, s1
	s_and_b32 s1, exec_lo, s1
	s_or_b32 s21, s1, s21
	s_andn2_b32 exec_lo, exec_lo, s21
	s_cbranch_execz .LBB36_18
.LBB36_10:                              ;   Parent Loop BB36_7 Depth=1
                                        ; =>  This Inner Loop Header: Depth=2
	global_load_dwordx2 v[15:16], v[11:12], off
	s_mov_b32 s1, exec_lo
	s_waitcnt vmcnt(0)
	v_sub_co_u32 v29, vcc_lo, v15, s7
	v_subrev_co_ci_u32_e64 v30, null, 0, v16, vcc_lo
                                        ; implicit-def: $vgpr15_vgpr16
	v_or_b32_e32 v4, s3, v30
	v_cmpx_ne_u64_e32 0, v[3:4]
	s_xor_b32 s22, exec_lo, s1
	s_cbranch_execz .LBB36_12
; %bb.11:                               ;   in Loop: Header=BB36_10 Depth=2
	s_add_u32 s16, s2, s14
	s_mov_b32 s15, s14
	s_addc_u32 s17, s3, s14
	v_ashrrev_i32_e32 v33, 31, v30
	s_xor_b64 s[16:17], s[16:17], s[14:15]
	v_cvt_f32_u32_e32 v4, s16
	v_cvt_f32_u32_e32 v15, s17
	s_sub_u32 s1, 0, s16
	s_subb_u32 s24, 0, s17
	v_add_co_u32 v16, vcc_lo, v29, v33
	v_fmac_f32_e32 v4, 0x4f800000, v15
	v_xor_b32_e32 v34, v16, v33
	v_rcp_f32_e32 v4, v4
	v_mul_f32_e32 v4, 0x5f7ffffc, v4
	v_mul_f32_e32 v15, 0x2f800000, v4
	v_trunc_f32_e32 v15, v15
	v_fmac_f32_e32 v4, 0xcf800000, v15
	v_cvt_u32_f32_e32 v15, v15
	v_cvt_u32_f32_e32 v4, v4
	v_readfirstlane_b32 s15, v15
	v_readfirstlane_b32 s23, v4
	s_mul_i32 s25, s1, s15
	v_add_co_ci_u32_e64 v4, null, v30, v33, vcc_lo
	s_mul_hi_u32 s27, s1, s23
	s_mul_i32 s26, s24, s23
	s_add_i32 s25, s27, s25
	s_mul_i32 s28, s1, s23
	s_add_i32 s25, s25, s26
	s_mul_hi_u32 s27, s23, s28
	s_mul_i32 s30, s23, s25
	s_mul_hi_u32 s29, s15, s28
	s_mul_i32 s26, s15, s28
	s_mul_hi_u32 s28, s23, s25
	s_add_u32 s27, s27, s30
	s_addc_u32 s28, 0, s28
	s_mul_hi_u32 s31, s15, s25
	s_add_u32 s26, s27, s26
	s_mul_i32 s25, s15, s25
	s_addc_u32 s26, s28, s29
	s_addc_u32 s27, s31, 0
	s_add_u32 s25, s26, s25
	s_addc_u32 s26, 0, s27
	s_add_u32 s23, s23, s25
	s_cselect_b32 s25, -1, 0
	s_mul_hi_u32 s27, s1, s23
	s_cmp_lg_u32 s25, 0
	s_mul_i32 s25, s1, s23
	s_addc_u32 s15, s15, s26
	s_mul_i32 s24, s24, s23
	s_mul_i32 s1, s1, s15
	s_mul_hi_u32 s26, s23, s25
	s_add_i32 s1, s27, s1
	s_mul_hi_u32 s27, s15, s25
	s_add_i32 s1, s1, s24
	s_mul_i32 s24, s15, s25
	s_mul_i32 s29, s23, s1
	s_mul_hi_u32 s28, s23, s1
	s_add_u32 s26, s26, s29
	s_addc_u32 s28, 0, s28
	s_mul_hi_u32 s25, s15, s1
	s_add_u32 s24, s26, s24
	s_mul_i32 s1, s15, s1
	s_addc_u32 s24, s28, s27
	s_addc_u32 s25, s25, 0
	s_add_u32 s1, s24, s1
	s_addc_u32 s24, 0, s25
	s_add_u32 s1, s23, s1
	s_cselect_b32 s23, -1, 0
	v_xor_b32_e32 v4, v4, v33
	s_cmp_lg_u32 s23, 0
	v_mul_hi_u32 v35, v34, s1
	s_addc_u32 s15, s15, s24
	v_mad_u64_u32 v[15:16], null, v34, s15, 0
	v_mad_u64_u32 v[29:30], null, v4, s1, 0
	;; [unrolled: 1-line block ×3, first 2 shown]
	v_add_co_u32 v15, vcc_lo, v35, v15
	v_add_co_ci_u32_e64 v16, null, 0, v16, vcc_lo
	v_add_co_u32 v15, vcc_lo, v15, v29
	v_add_co_ci_u32_e32 v15, vcc_lo, v16, v30, vcc_lo
	v_add_co_ci_u32_e32 v16, vcc_lo, 0, v32, vcc_lo
	v_add_co_u32 v29, vcc_lo, v15, v31
	v_add_co_ci_u32_e64 v30, null, 0, v16, vcc_lo
	v_mul_lo_u32 v31, s17, v29
	v_mad_u64_u32 v[15:16], null, s16, v29, 0
	v_mul_lo_u32 v32, s16, v30
	v_sub_co_u32 v15, vcc_lo, v34, v15
	v_add3_u32 v16, v16, v32, v31
	v_add_co_u32 v32, s1, v29, 2
	v_add_co_ci_u32_e64 v34, null, 0, v30, s1
	v_sub_nc_u32_e32 v31, v4, v16
	v_sub_co_u32 v35, s1, v15, s16
	v_sub_co_ci_u32_e64 v4, null, v4, v16, vcc_lo
	v_subrev_co_ci_u32_e64 v31, null, s17, v31, vcc_lo
	v_cmp_le_u32_e32 vcc_lo, s16, v35
	v_subrev_co_ci_u32_e64 v31, null, 0, v31, s1
	v_cndmask_b32_e64 v16, 0, -1, vcc_lo
	v_cmp_le_u32_e32 vcc_lo, s17, v31
	v_cndmask_b32_e64 v35, 0, -1, vcc_lo
	v_cmp_le_u32_e32 vcc_lo, s16, v15
	;; [unrolled: 2-line block ×3, first 2 shown]
	v_cndmask_b32_e64 v36, 0, -1, vcc_lo
	v_cmp_eq_u32_e32 vcc_lo, s17, v31
	v_cndmask_b32_e32 v16, v35, v16, vcc_lo
	v_add_co_u32 v31, vcc_lo, v29, 1
	v_add_co_ci_u32_e64 v35, null, 0, v30, vcc_lo
	v_cmp_eq_u32_e32 vcc_lo, s17, v4
	v_cndmask_b32_e32 v4, v36, v15, vcc_lo
	v_cmp_ne_u32_e32 vcc_lo, 0, v16
	v_xor_b32_e32 v16, s14, v33
	v_cmp_ne_u32_e64 s1, 0, v4
	v_cndmask_b32_e32 v4, v31, v32, vcc_lo
	v_cndmask_b32_e32 v15, v35, v34, vcc_lo
	v_cndmask_b32_e64 v4, v29, v4, s1
	v_cndmask_b32_e64 v15, v30, v15, s1
	v_xor_b32_e32 v4, v4, v16
	v_xor_b32_e32 v29, v15, v16
	v_sub_co_u32 v15, vcc_lo, v4, v16
	v_sub_co_ci_u32_e64 v16, null, v29, v16, vcc_lo
                                        ; implicit-def: $vgpr29
.LBB36_12:                              ;   in Loop: Header=BB36_10 Depth=2
	s_andn2_saveexec_b32 s1, s22
	s_cbranch_execz .LBB36_14
; %bb.13:                               ;   in Loop: Header=BB36_10 Depth=2
	v_cvt_f32_u32_e32 v4, s2
	v_rcp_iflag_f32_e32 v4, v4
	v_mul_f32_e32 v4, 0x4f7ffffe, v4
	v_cvt_u32_f32_e32 v4, v4
	v_mul_lo_u32 v15, s19, v4
	v_mul_hi_u32 v15, v4, v15
	v_add_nc_u32_e32 v4, v4, v15
	v_mul_hi_u32 v4, v29, v4
	v_mul_lo_u32 v15, v4, s2
	v_add_nc_u32_e32 v16, 1, v4
	v_sub_nc_u32_e32 v15, v29, v15
	v_subrev_nc_u32_e32 v29, s2, v15
	v_cmp_le_u32_e32 vcc_lo, s2, v15
	v_cndmask_b32_e32 v15, v15, v29, vcc_lo
	v_cndmask_b32_e32 v4, v4, v16, vcc_lo
	v_cmp_le_u32_e32 vcc_lo, s2, v15
	v_add_nc_u32_e32 v16, 1, v4
	v_cndmask_b32_e32 v15, v4, v16, vcc_lo
	v_mov_b32_e32 v16, v3
.LBB36_14:                              ;   in Loop: Header=BB36_10 Depth=2
	s_or_b32 exec_lo, exec_lo, s1
	s_mov_b32 s15, exec_lo
	v_cmp_eq_u64_e32 vcc_lo, v[15:16], v[7:8]
	v_cmpx_ne_u64_e64 v[15:16], v[7:8]
	s_xor_b32 s15, exec_lo, s15
; %bb.15:                               ;   in Loop: Header=BB36_10 Depth=2
	v_cmp_lt_i64_e64 s1, v[15:16], v[5:6]
                                        ; implicit-def: $vgpr13_vgpr14
	v_cndmask_b32_e64 v6, v6, v16, s1
	v_cndmask_b32_e64 v5, v5, v15, s1
; %bb.16:                               ;   in Loop: Header=BB36_10 Depth=2
	s_or_saveexec_b32 s1, s15
	v_mov_b32_e32 v16, v10
	v_mov_b32_e32 v15, v9
	s_xor_b32 exec_lo, exec_lo, s1
	s_cbranch_execz .LBB36_9
; %bb.17:                               ;   in Loop: Header=BB36_10 Depth=2
	v_mov_b32_e32 v16, v14
	v_mov_b32_e32 v15, v13
	ds_write_b8 v17, v28 offset:32
	s_branch .LBB36_9
.LBB36_18:                              ;   in Loop: Header=BB36_7 Depth=1
	s_or_b32 exec_lo, exec_lo, s21
.LBB36_19:                              ;   in Loop: Header=BB36_7 Depth=1
	s_or_b32 exec_lo, exec_lo, s20
	ds_bpermute_b32 v7, v20, v15
	ds_bpermute_b32 v8, v20, v16
	s_waitcnt lgkmcnt(0)
	buffer_gl0_inv
	ds_read_u8 v4, v17 offset:32
	v_cmp_lt_i64_e32 vcc_lo, v[7:8], v[15:16]
	s_waitcnt lgkmcnt(0)
	v_and_b32_e32 v4, 1, v4
	v_cndmask_b32_e32 v8, v16, v8, vcc_lo
	v_cndmask_b32_e32 v7, v15, v7, vcc_lo
	ds_bpermute_b32 v10, v21, v8
	ds_bpermute_b32 v9, v21, v7
	s_waitcnt lgkmcnt(0)
	v_cmp_lt_i64_e32 vcc_lo, v[9:10], v[7:8]
	v_cndmask_b32_e32 v8, v8, v10, vcc_lo
	v_cndmask_b32_e32 v7, v7, v9, vcc_lo
	ds_bpermute_b32 v10, v22, v8
	ds_bpermute_b32 v9, v22, v7
	s_waitcnt lgkmcnt(0)
	v_cmp_lt_i64_e32 vcc_lo, v[9:10], v[7:8]
	v_cndmask_b32_e32 v8, v8, v10, vcc_lo
	v_cndmask_b32_e32 v7, v7, v9, vcc_lo
	v_cmp_eq_u32_e32 vcc_lo, 1, v4
	ds_bpermute_b32 v10, v23, v8
	ds_bpermute_b32 v9, v23, v7
	s_and_b32 s15, s0, vcc_lo
	s_and_saveexec_b32 s1, s15
	s_cbranch_execz .LBB36_6
; %bb.20:                               ;   in Loop: Header=BB36_7 Depth=1
	ds_read_b64 v[7:8], v18
	s_waitcnt lgkmcnt(0)
	v_add_co_u32 v7, vcc_lo, v7, 1
	v_add_co_ci_u32_e64 v8, null, 0, v8, vcc_lo
	ds_write_b64 v18, v[7:8]
	s_branch .LBB36_6
.LBB36_21:
	s_or_b32 exec_lo, exec_lo, s18
.LBB36_22:
	s_mov_b32 s0, exec_lo
	v_cmpx_eq_u32_e32 0, v19
	s_cbranch_execz .LBB36_25
; %bb.23:
	s_clause 0x1
	s_load_dword s2, s[4:5], 0x40
	s_load_dwordx2 s[0:1], s[4:5], 0x48
	v_mov_b32_e32 v1, 0
	s_waitcnt lgkmcnt(0)
	v_mov_b32_e32 v0, s2
	global_store_dwordx2 v1, v[0:1], s[0:1]
	v_lshl_or_b32 v0, s6, 2, v17
	v_cmp_gt_i64_e32 vcc_lo, s[8:9], v[0:1]
	s_and_b32 exec_lo, exec_lo, vcc_lo
	s_cbranch_execz .LBB36_25
; %bb.24:
	ds_read_b64 v[2:3], v18
	v_add_nc_u32_e32 v0, 1, v0
	v_lshlrev_b64 v[0:1], 3, v[0:1]
	v_add_co_u32 v0, vcc_lo, s0, v0
	v_add_co_ci_u32_e64 v1, null, s1, v1, vcc_lo
	s_waitcnt lgkmcnt(0)
	global_store_dwordx2 v[0:1], v[2:3], off
.LBB36_25:
	s_endpgm
	.section	.rodata,"a",@progbits
	.p2align	6, 0x0
	.amdhsa_kernel _ZN9rocsparseL46csr2bsr_nnz_wavefront_per_row_multipass_kernelILj256ELj64ELj8EllEEvT3_S1_S1_S1_S1_21rocsparse_index_base_PKT2_PKS1_S2_PS3_
		.amdhsa_group_segment_fixed_size 40
		.amdhsa_private_segment_fixed_size 0
		.amdhsa_kernarg_size 80
		.amdhsa_user_sgpr_count 6
		.amdhsa_user_sgpr_private_segment_buffer 1
		.amdhsa_user_sgpr_dispatch_ptr 0
		.amdhsa_user_sgpr_queue_ptr 0
		.amdhsa_user_sgpr_kernarg_segment_ptr 1
		.amdhsa_user_sgpr_dispatch_id 0
		.amdhsa_user_sgpr_flat_scratch_init 0
		.amdhsa_user_sgpr_private_segment_size 0
		.amdhsa_wavefront_size32 1
		.amdhsa_uses_dynamic_stack 0
		.amdhsa_system_sgpr_private_segment_wavefront_offset 0
		.amdhsa_system_sgpr_workgroup_id_x 1
		.amdhsa_system_sgpr_workgroup_id_y 0
		.amdhsa_system_sgpr_workgroup_id_z 0
		.amdhsa_system_sgpr_workgroup_info 0
		.amdhsa_system_vgpr_workitem_id 0
		.amdhsa_next_free_vgpr 37
		.amdhsa_next_free_sgpr 32
		.amdhsa_reserve_vcc 1
		.amdhsa_reserve_flat_scratch 0
		.amdhsa_float_round_mode_32 0
		.amdhsa_float_round_mode_16_64 0
		.amdhsa_float_denorm_mode_32 3
		.amdhsa_float_denorm_mode_16_64 3
		.amdhsa_dx10_clamp 1
		.amdhsa_ieee_mode 1
		.amdhsa_fp16_overflow 0
		.amdhsa_workgroup_processor_mode 1
		.amdhsa_memory_ordered 1
		.amdhsa_forward_progress 1
		.amdhsa_shared_vgpr_count 0
		.amdhsa_exception_fp_ieee_invalid_op 0
		.amdhsa_exception_fp_denorm_src 0
		.amdhsa_exception_fp_ieee_div_zero 0
		.amdhsa_exception_fp_ieee_overflow 0
		.amdhsa_exception_fp_ieee_underflow 0
		.amdhsa_exception_fp_ieee_inexact 0
		.amdhsa_exception_int_div_zero 0
	.end_amdhsa_kernel
	.section	.text._ZN9rocsparseL46csr2bsr_nnz_wavefront_per_row_multipass_kernelILj256ELj64ELj8EllEEvT3_S1_S1_S1_S1_21rocsparse_index_base_PKT2_PKS1_S2_PS3_,"axG",@progbits,_ZN9rocsparseL46csr2bsr_nnz_wavefront_per_row_multipass_kernelILj256ELj64ELj8EllEEvT3_S1_S1_S1_S1_21rocsparse_index_base_PKT2_PKS1_S2_PS3_,comdat
.Lfunc_end36:
	.size	_ZN9rocsparseL46csr2bsr_nnz_wavefront_per_row_multipass_kernelILj256ELj64ELj8EllEEvT3_S1_S1_S1_S1_21rocsparse_index_base_PKT2_PKS1_S2_PS3_, .Lfunc_end36-_ZN9rocsparseL46csr2bsr_nnz_wavefront_per_row_multipass_kernelILj256ELj64ELj8EllEEvT3_S1_S1_S1_S1_21rocsparse_index_base_PKT2_PKS1_S2_PS3_
                                        ; -- End function
	.set _ZN9rocsparseL46csr2bsr_nnz_wavefront_per_row_multipass_kernelILj256ELj64ELj8EllEEvT3_S1_S1_S1_S1_21rocsparse_index_base_PKT2_PKS1_S2_PS3_.num_vgpr, 37
	.set _ZN9rocsparseL46csr2bsr_nnz_wavefront_per_row_multipass_kernelILj256ELj64ELj8EllEEvT3_S1_S1_S1_S1_21rocsparse_index_base_PKT2_PKS1_S2_PS3_.num_agpr, 0
	.set _ZN9rocsparseL46csr2bsr_nnz_wavefront_per_row_multipass_kernelILj256ELj64ELj8EllEEvT3_S1_S1_S1_S1_21rocsparse_index_base_PKT2_PKS1_S2_PS3_.numbered_sgpr, 32
	.set _ZN9rocsparseL46csr2bsr_nnz_wavefront_per_row_multipass_kernelILj256ELj64ELj8EllEEvT3_S1_S1_S1_S1_21rocsparse_index_base_PKT2_PKS1_S2_PS3_.num_named_barrier, 0
	.set _ZN9rocsparseL46csr2bsr_nnz_wavefront_per_row_multipass_kernelILj256ELj64ELj8EllEEvT3_S1_S1_S1_S1_21rocsparse_index_base_PKT2_PKS1_S2_PS3_.private_seg_size, 0
	.set _ZN9rocsparseL46csr2bsr_nnz_wavefront_per_row_multipass_kernelILj256ELj64ELj8EllEEvT3_S1_S1_S1_S1_21rocsparse_index_base_PKT2_PKS1_S2_PS3_.uses_vcc, 1
	.set _ZN9rocsparseL46csr2bsr_nnz_wavefront_per_row_multipass_kernelILj256ELj64ELj8EllEEvT3_S1_S1_S1_S1_21rocsparse_index_base_PKT2_PKS1_S2_PS3_.uses_flat_scratch, 0
	.set _ZN9rocsparseL46csr2bsr_nnz_wavefront_per_row_multipass_kernelILj256ELj64ELj8EllEEvT3_S1_S1_S1_S1_21rocsparse_index_base_PKT2_PKS1_S2_PS3_.has_dyn_sized_stack, 0
	.set _ZN9rocsparseL46csr2bsr_nnz_wavefront_per_row_multipass_kernelILj256ELj64ELj8EllEEvT3_S1_S1_S1_S1_21rocsparse_index_base_PKT2_PKS1_S2_PS3_.has_recursion, 0
	.set _ZN9rocsparseL46csr2bsr_nnz_wavefront_per_row_multipass_kernelILj256ELj64ELj8EllEEvT3_S1_S1_S1_S1_21rocsparse_index_base_PKT2_PKS1_S2_PS3_.has_indirect_call, 0
	.section	.AMDGPU.csdata,"",@progbits
; Kernel info:
; codeLenInByte = 2116
; TotalNumSgprs: 34
; NumVgprs: 37
; ScratchSize: 0
; MemoryBound: 0
; FloatMode: 240
; IeeeMode: 1
; LDSByteSize: 40 bytes/workgroup (compile time only)
; SGPRBlocks: 0
; VGPRBlocks: 4
; NumSGPRsForWavesPerEU: 34
; NumVGPRsForWavesPerEU: 37
; Occupancy: 16
; WaveLimiterHint : 0
; COMPUTE_PGM_RSRC2:SCRATCH_EN: 0
; COMPUTE_PGM_RSRC2:USER_SGPR: 6
; COMPUTE_PGM_RSRC2:TRAP_HANDLER: 0
; COMPUTE_PGM_RSRC2:TGID_X_EN: 1
; COMPUTE_PGM_RSRC2:TGID_Y_EN: 0
; COMPUTE_PGM_RSRC2:TGID_Z_EN: 0
; COMPUTE_PGM_RSRC2:TIDIG_COMP_CNT: 0
	.section	.text._ZN9rocsparseL46csr2bsr_nnz_wavefront_per_row_multipass_kernelILj256ELj32ELj8EllEEvT3_S1_S1_S1_S1_21rocsparse_index_base_PKT2_PKS1_S2_PS3_,"axG",@progbits,_ZN9rocsparseL46csr2bsr_nnz_wavefront_per_row_multipass_kernelILj256ELj32ELj8EllEEvT3_S1_S1_S1_S1_21rocsparse_index_base_PKT2_PKS1_S2_PS3_,comdat
	.globl	_ZN9rocsparseL46csr2bsr_nnz_wavefront_per_row_multipass_kernelILj256ELj32ELj8EllEEvT3_S1_S1_S1_S1_21rocsparse_index_base_PKT2_PKS1_S2_PS3_ ; -- Begin function _ZN9rocsparseL46csr2bsr_nnz_wavefront_per_row_multipass_kernelILj256ELj32ELj8EllEEvT3_S1_S1_S1_S1_21rocsparse_index_base_PKT2_PKS1_S2_PS3_
	.p2align	8
	.type	_ZN9rocsparseL46csr2bsr_nnz_wavefront_per_row_multipass_kernelILj256ELj32ELj8EllEEvT3_S1_S1_S1_S1_21rocsparse_index_base_PKT2_PKS1_S2_PS3_,@function
_ZN9rocsparseL46csr2bsr_nnz_wavefront_per_row_multipass_kernelILj256ELj32ELj8EllEEvT3_S1_S1_S1_S1_21rocsparse_index_base_PKT2_PKS1_S2_PS3_: ; @_ZN9rocsparseL46csr2bsr_nnz_wavefront_per_row_multipass_kernelILj256ELj32ELj8EllEEvT3_S1_S1_S1_S1_21rocsparse_index_base_PKT2_PKS1_S2_PS3_
; %bb.0:
	s_load_dwordx2 s[2:3], s[4:5], 0x20
	v_lshrrev_b32_e32 v17, 5, v0
	s_ashr_i32 s7, s6, 31
	s_clause 0x1
	s_load_dwordx2 s[14:15], s[4:5], 0x0
	s_load_dwordx4 s[8:11], s[4:5], 0x10
	s_lshl_b64 s[0:1], s[6:7], 3
	v_mov_b32_e32 v2, 0
	v_or_b32_e32 v3, s0, v17
	v_bfe_u32 v1, v0, 2, 3
	s_clause 0x1
	s_load_dword s7, s[4:5], 0x28
	s_load_dwordx2 s[12:13], s[4:5], 0x30
	v_mov_b32_e32 v9, 0
	v_mov_b32_e32 v6, v2
	v_lshlrev_b32_e32 v18, 3, v17
	v_mov_b32_e32 v10, 0
	s_waitcnt lgkmcnt(0)
	v_mul_lo_u32 v5, v3, s3
	v_mad_u64_u32 v[3:4], null, v3, s2, v[1:2]
	s_mul_i32 s0, s1, s2
	v_add3_u32 v4, s0, v4, v5
	v_cmp_gt_i64_e64 s0, s[2:3], v[1:2]
	v_mov_b32_e32 v5, v2
	v_mov_b32_e32 v1, 0
	;; [unrolled: 1-line block ×3, first 2 shown]
	v_cmp_gt_i64_e32 vcc_lo, s[14:15], v[3:4]
	ds_write_b64 v18, v[5:6]
	s_waitcnt lgkmcnt(0)
	s_barrier
	buffer_gl0_inv
	s_and_b32 s0, s0, vcc_lo
	s_and_saveexec_b32 s1, s0
	s_cbranch_execz .LBB37_2
; %bb.1:
	v_lshlrev_b64 v[5:6], 3, v[3:4]
	v_add_co_u32 v5, vcc_lo, s12, v5
	v_add_co_ci_u32_e64 v6, null, s13, v6, vcc_lo
	global_load_dwordx2 v[5:6], v[5:6], off
	s_waitcnt vmcnt(0)
	v_sub_co_u32 v9, vcc_lo, v5, s7
	v_subrev_co_ci_u32_e64 v10, null, 0, v6, vcc_lo
.LBB37_2:
	s_or_b32 exec_lo, exec_lo, s1
	s_and_saveexec_b32 s1, s0
	s_cbranch_execz .LBB37_4
; %bb.3:
	v_lshlrev_b64 v[1:2], 3, v[3:4]
	v_add_co_u32 v1, vcc_lo, s12, v1
	v_add_co_ci_u32_e64 v2, null, s13, v2, vcc_lo
	global_load_dwordx2 v[1:2], v[1:2], off offset:8
	s_waitcnt vmcnt(0)
	v_sub_co_u32 v1, vcc_lo, v1, s7
	v_subrev_co_ci_u32_e64 v2, null, 0, v2, vcc_lo
.LBB37_4:
	s_or_b32 exec_lo, exec_lo, s1
	v_cmp_lt_i64_e64 s0, s[10:11], 1
	v_and_b32_e32 v19, 31, v0
	s_and_b32 vcc_lo, exec_lo, s0
	v_cmp_eq_u32_e64 s0, 0, v19
	s_cbranch_vccnz .LBB37_22
; %bb.5:
	v_mbcnt_lo_u32_b32 v4, -1, 0
	s_load_dwordx2 s[12:13], s[4:5], 0x38
	v_and_b32_e32 v0, 3, v0
	v_mov_b32_e32 v3, 0
	v_mov_b32_e32 v26, 0x7c
	v_xor_b32_e32 v5, 2, v4
	v_xor_b32_e32 v6, 1, v4
	;; [unrolled: 1-line block ×5, first 2 shown]
	v_cmp_gt_i32_e32 vcc_lo, 32, v5
	v_lshl_or_b32 v22, v4, 2, 12
	v_mov_b32_e32 v27, 1
	s_mov_b32 s18, 0
	s_ashr_i32 s14, s3, 31
	v_cndmask_b32_e32 v5, v4, v5, vcc_lo
	v_cmp_gt_i32_e32 vcc_lo, 32, v6
	s_sub_i32 s19, 0, s2
	v_lshlrev_b32_e32 v20, 2, v5
	v_cndmask_b32_e32 v6, v4, v6, vcc_lo
	v_cmp_gt_i32_e32 vcc_lo, 32, v7
	v_lshlrev_b32_e32 v21, 2, v6
	v_cndmask_b32_e32 v7, v4, v7, vcc_lo
	v_cmp_gt_i32_e32 vcc_lo, 32, v8
	;; [unrolled: 3-line block ×3, first 2 shown]
	v_lshlrev_b32_e32 v24, 2, v5
	v_cndmask_b32_e32 v8, v4, v11, vcc_lo
	v_lshlrev_b32_e32 v25, 2, v8
	v_mov_b32_e32 v7, 0
	v_mov_b32_e32 v8, 0
	s_branch .LBB37_7
.LBB37_6:                               ;   in Loop: Header=BB37_7 Depth=1
	s_or_b32 exec_lo, exec_lo, s1
	ds_bpermute_b32 v7, v23, v5
	ds_bpermute_b32 v8, v23, v6
	s_waitcnt lgkmcnt(0)
	buffer_gl0_inv
	v_cmp_lt_i64_e32 vcc_lo, v[7:8], v[5:6]
	v_cndmask_b32_e32 v6, v6, v8, vcc_lo
	v_cndmask_b32_e32 v5, v5, v7, vcc_lo
	ds_bpermute_b32 v8, v24, v6
	ds_bpermute_b32 v7, v24, v5
	s_waitcnt lgkmcnt(0)
	v_cmp_lt_i64_e32 vcc_lo, v[7:8], v[5:6]
	v_cndmask_b32_e32 v6, v6, v8, vcc_lo
	v_cndmask_b32_e32 v5, v5, v7, vcc_lo
	ds_bpermute_b32 v8, v25, v6
	ds_bpermute_b32 v7, v25, v5
	s_waitcnt lgkmcnt(0)
	;; [unrolled: 6-line block ×5, first 2 shown]
	v_cmp_le_i64_e32 vcc_lo, s[10:11], v[7:8]
	s_or_b32 s18, vcc_lo, s18
	s_andn2_b32 exec_lo, exec_lo, s18
	s_cbranch_execz .LBB37_21
.LBB37_7:                               ; =>This Loop Header: Depth=1
                                        ;     Child Loop BB37_10 Depth 2
	v_add_co_u32 v9, vcc_lo, v9, v0
	v_mov_b32_e32 v5, s10
	v_mov_b32_e32 v16, v2
	v_add_co_ci_u32_e64 v10, null, 0, v10, vcc_lo
	v_mov_b32_e32 v6, s11
	v_mov_b32_e32 v15, v1
	s_mov_b32 s20, exec_lo
	ds_write_b8 v17, v3 offset:64
	s_waitcnt lgkmcnt(0)
	buffer_gl0_inv
	v_cmpx_lt_i64_e64 v[9:10], v[1:2]
	s_cbranch_execz .LBB37_19
; %bb.8:                                ;   in Loop: Header=BB37_7 Depth=1
	v_lshlrev_b64 v[11:12], 3, v[9:10]
	v_mov_b32_e32 v5, s10
	v_mov_b32_e32 v14, v2
	;; [unrolled: 1-line block ×4, first 2 shown]
	s_mov_b32 s21, 0
	v_add_co_u32 v11, vcc_lo, s12, v11
	v_add_co_ci_u32_e64 v12, null, s13, v12, vcc_lo
	s_branch .LBB37_10
.LBB37_9:                               ;   in Loop: Header=BB37_10 Depth=2
	s_or_b32 exec_lo, exec_lo, s1
	v_add_co_u32 v9, s1, v9, 4
	v_add_co_ci_u32_e64 v10, null, 0, v10, s1
	s_xor_b32 s15, vcc_lo, -1
	v_add_co_u32 v11, vcc_lo, v11, 32
	v_cmp_ge_i64_e64 s1, v[9:10], v[1:2]
	v_mov_b32_e32 v13, v15
	v_add_co_ci_u32_e64 v12, null, 0, v12, vcc_lo
	v_mov_b32_e32 v14, v16
	s_or_b32 s1, s15, s1
	s_and_b32 s1, exec_lo, s1
	s_or_b32 s21, s1, s21
	s_andn2_b32 exec_lo, exec_lo, s21
	s_cbranch_execz .LBB37_18
.LBB37_10:                              ;   Parent Loop BB37_7 Depth=1
                                        ; =>  This Inner Loop Header: Depth=2
	global_load_dwordx2 v[15:16], v[11:12], off
	s_mov_b32 s1, exec_lo
	s_waitcnt vmcnt(0)
	v_sub_co_u32 v28, vcc_lo, v15, s7
	v_subrev_co_ci_u32_e64 v29, null, 0, v16, vcc_lo
                                        ; implicit-def: $vgpr15_vgpr16
	v_or_b32_e32 v4, s3, v29
	v_cmpx_ne_u64_e32 0, v[3:4]
	s_xor_b32 s22, exec_lo, s1
	s_cbranch_execz .LBB37_12
; %bb.11:                               ;   in Loop: Header=BB37_10 Depth=2
	s_add_u32 s16, s2, s14
	s_mov_b32 s15, s14
	s_addc_u32 s17, s3, s14
	v_ashrrev_i32_e32 v32, 31, v29
	s_xor_b64 s[16:17], s[16:17], s[14:15]
	v_cvt_f32_u32_e32 v4, s16
	v_cvt_f32_u32_e32 v15, s17
	s_sub_u32 s1, 0, s16
	s_subb_u32 s24, 0, s17
	v_add_co_u32 v16, vcc_lo, v28, v32
	v_fmac_f32_e32 v4, 0x4f800000, v15
	v_xor_b32_e32 v33, v16, v32
	v_rcp_f32_e32 v4, v4
	v_mul_f32_e32 v4, 0x5f7ffffc, v4
	v_mul_f32_e32 v15, 0x2f800000, v4
	v_trunc_f32_e32 v15, v15
	v_fmac_f32_e32 v4, 0xcf800000, v15
	v_cvt_u32_f32_e32 v15, v15
	v_cvt_u32_f32_e32 v4, v4
	v_readfirstlane_b32 s15, v15
	v_readfirstlane_b32 s23, v4
	s_mul_i32 s25, s1, s15
	v_add_co_ci_u32_e64 v4, null, v29, v32, vcc_lo
	s_mul_hi_u32 s27, s1, s23
	s_mul_i32 s26, s24, s23
	s_add_i32 s25, s27, s25
	s_mul_i32 s28, s1, s23
	s_add_i32 s25, s25, s26
	s_mul_hi_u32 s27, s23, s28
	s_mul_i32 s30, s23, s25
	s_mul_hi_u32 s29, s15, s28
	s_mul_i32 s26, s15, s28
	s_mul_hi_u32 s28, s23, s25
	s_add_u32 s27, s27, s30
	s_addc_u32 s28, 0, s28
	s_mul_hi_u32 s31, s15, s25
	s_add_u32 s26, s27, s26
	s_mul_i32 s25, s15, s25
	s_addc_u32 s26, s28, s29
	s_addc_u32 s27, s31, 0
	s_add_u32 s25, s26, s25
	s_addc_u32 s26, 0, s27
	s_add_u32 s23, s23, s25
	s_cselect_b32 s25, -1, 0
	s_mul_hi_u32 s27, s1, s23
	s_cmp_lg_u32 s25, 0
	s_mul_i32 s25, s1, s23
	s_addc_u32 s15, s15, s26
	s_mul_i32 s24, s24, s23
	s_mul_i32 s1, s1, s15
	s_mul_hi_u32 s26, s23, s25
	s_add_i32 s1, s27, s1
	s_mul_hi_u32 s27, s15, s25
	s_add_i32 s1, s1, s24
	s_mul_i32 s24, s15, s25
	s_mul_i32 s29, s23, s1
	s_mul_hi_u32 s28, s23, s1
	s_add_u32 s26, s26, s29
	s_addc_u32 s28, 0, s28
	s_mul_hi_u32 s25, s15, s1
	s_add_u32 s24, s26, s24
	s_mul_i32 s1, s15, s1
	s_addc_u32 s24, s28, s27
	s_addc_u32 s25, s25, 0
	s_add_u32 s1, s24, s1
	s_addc_u32 s24, 0, s25
	s_add_u32 s1, s23, s1
	s_cselect_b32 s23, -1, 0
	v_xor_b32_e32 v4, v4, v32
	s_cmp_lg_u32 s23, 0
	v_mul_hi_u32 v34, v33, s1
	s_addc_u32 s15, s15, s24
	v_mad_u64_u32 v[15:16], null, v33, s15, 0
	v_mad_u64_u32 v[28:29], null, v4, s1, 0
	;; [unrolled: 1-line block ×3, first 2 shown]
	v_add_co_u32 v15, vcc_lo, v34, v15
	v_add_co_ci_u32_e64 v16, null, 0, v16, vcc_lo
	v_add_co_u32 v15, vcc_lo, v15, v28
	v_add_co_ci_u32_e32 v15, vcc_lo, v16, v29, vcc_lo
	v_add_co_ci_u32_e32 v16, vcc_lo, 0, v31, vcc_lo
	v_add_co_u32 v28, vcc_lo, v15, v30
	v_add_co_ci_u32_e64 v29, null, 0, v16, vcc_lo
	v_mul_lo_u32 v30, s17, v28
	v_mad_u64_u32 v[15:16], null, s16, v28, 0
	v_mul_lo_u32 v31, s16, v29
	v_sub_co_u32 v15, vcc_lo, v33, v15
	v_add3_u32 v16, v16, v31, v30
	v_add_co_u32 v31, s1, v28, 2
	v_add_co_ci_u32_e64 v33, null, 0, v29, s1
	v_sub_nc_u32_e32 v30, v4, v16
	v_sub_co_u32 v34, s1, v15, s16
	v_sub_co_ci_u32_e64 v4, null, v4, v16, vcc_lo
	v_subrev_co_ci_u32_e64 v30, null, s17, v30, vcc_lo
	v_cmp_le_u32_e32 vcc_lo, s16, v34
	v_subrev_co_ci_u32_e64 v30, null, 0, v30, s1
	v_cndmask_b32_e64 v16, 0, -1, vcc_lo
	v_cmp_le_u32_e32 vcc_lo, s17, v30
	v_cndmask_b32_e64 v34, 0, -1, vcc_lo
	v_cmp_le_u32_e32 vcc_lo, s16, v15
	;; [unrolled: 2-line block ×3, first 2 shown]
	v_cndmask_b32_e64 v35, 0, -1, vcc_lo
	v_cmp_eq_u32_e32 vcc_lo, s17, v30
	v_cndmask_b32_e32 v16, v34, v16, vcc_lo
	v_add_co_u32 v30, vcc_lo, v28, 1
	v_add_co_ci_u32_e64 v34, null, 0, v29, vcc_lo
	v_cmp_eq_u32_e32 vcc_lo, s17, v4
	v_cndmask_b32_e32 v4, v35, v15, vcc_lo
	v_cmp_ne_u32_e32 vcc_lo, 0, v16
	v_xor_b32_e32 v16, s14, v32
	v_cmp_ne_u32_e64 s1, 0, v4
	v_cndmask_b32_e32 v4, v30, v31, vcc_lo
	v_cndmask_b32_e32 v15, v34, v33, vcc_lo
	v_cndmask_b32_e64 v4, v28, v4, s1
	v_cndmask_b32_e64 v15, v29, v15, s1
	v_xor_b32_e32 v4, v4, v16
	v_xor_b32_e32 v28, v15, v16
	v_sub_co_u32 v15, vcc_lo, v4, v16
	v_sub_co_ci_u32_e64 v16, null, v28, v16, vcc_lo
                                        ; implicit-def: $vgpr28
.LBB37_12:                              ;   in Loop: Header=BB37_10 Depth=2
	s_andn2_saveexec_b32 s1, s22
	s_cbranch_execz .LBB37_14
; %bb.13:                               ;   in Loop: Header=BB37_10 Depth=2
	v_cvt_f32_u32_e32 v4, s2
	v_rcp_iflag_f32_e32 v4, v4
	v_mul_f32_e32 v4, 0x4f7ffffe, v4
	v_cvt_u32_f32_e32 v4, v4
	v_mul_lo_u32 v15, s19, v4
	v_mul_hi_u32 v15, v4, v15
	v_add_nc_u32_e32 v4, v4, v15
	v_mul_hi_u32 v4, v28, v4
	v_mul_lo_u32 v15, v4, s2
	v_add_nc_u32_e32 v16, 1, v4
	v_sub_nc_u32_e32 v15, v28, v15
	v_subrev_nc_u32_e32 v28, s2, v15
	v_cmp_le_u32_e32 vcc_lo, s2, v15
	v_cndmask_b32_e32 v15, v15, v28, vcc_lo
	v_cndmask_b32_e32 v4, v4, v16, vcc_lo
	v_cmp_le_u32_e32 vcc_lo, s2, v15
	v_add_nc_u32_e32 v16, 1, v4
	v_cndmask_b32_e32 v15, v4, v16, vcc_lo
	v_mov_b32_e32 v16, v3
.LBB37_14:                              ;   in Loop: Header=BB37_10 Depth=2
	s_or_b32 exec_lo, exec_lo, s1
	s_mov_b32 s15, exec_lo
	v_cmp_eq_u64_e32 vcc_lo, v[15:16], v[7:8]
	v_cmpx_ne_u64_e64 v[15:16], v[7:8]
	s_xor_b32 s15, exec_lo, s15
; %bb.15:                               ;   in Loop: Header=BB37_10 Depth=2
	v_cmp_lt_i64_e64 s1, v[15:16], v[5:6]
                                        ; implicit-def: $vgpr13_vgpr14
	v_cndmask_b32_e64 v6, v6, v16, s1
	v_cndmask_b32_e64 v5, v5, v15, s1
; %bb.16:                               ;   in Loop: Header=BB37_10 Depth=2
	s_or_saveexec_b32 s1, s15
	v_mov_b32_e32 v16, v10
	v_mov_b32_e32 v15, v9
	s_xor_b32 exec_lo, exec_lo, s1
	s_cbranch_execz .LBB37_9
; %bb.17:                               ;   in Loop: Header=BB37_10 Depth=2
	v_mov_b32_e32 v16, v14
	v_mov_b32_e32 v15, v13
	ds_write_b8 v17, v27 offset:64
	s_branch .LBB37_9
.LBB37_18:                              ;   in Loop: Header=BB37_7 Depth=1
	s_or_b32 exec_lo, exec_lo, s21
.LBB37_19:                              ;   in Loop: Header=BB37_7 Depth=1
	s_or_b32 exec_lo, exec_lo, s20
	ds_bpermute_b32 v7, v20, v15
	ds_bpermute_b32 v8, v20, v16
	s_waitcnt lgkmcnt(0)
	buffer_gl0_inv
	ds_read_u8 v4, v17 offset:64
	v_cmp_lt_i64_e32 vcc_lo, v[7:8], v[15:16]
	s_waitcnt lgkmcnt(0)
	v_and_b32_e32 v4, 1, v4
	v_cndmask_b32_e32 v8, v16, v8, vcc_lo
	v_cndmask_b32_e32 v7, v15, v7, vcc_lo
	ds_bpermute_b32 v10, v21, v8
	ds_bpermute_b32 v9, v21, v7
	s_waitcnt lgkmcnt(0)
	v_cmp_lt_i64_e32 vcc_lo, v[9:10], v[7:8]
	v_cndmask_b32_e32 v8, v8, v10, vcc_lo
	v_cndmask_b32_e32 v7, v7, v9, vcc_lo
	v_cmp_eq_u32_e32 vcc_lo, 1, v4
	ds_bpermute_b32 v10, v22, v8
	ds_bpermute_b32 v9, v22, v7
	s_and_b32 s15, s0, vcc_lo
	s_and_saveexec_b32 s1, s15
	s_cbranch_execz .LBB37_6
; %bb.20:                               ;   in Loop: Header=BB37_7 Depth=1
	ds_read_b64 v[7:8], v18
	s_waitcnt lgkmcnt(0)
	v_add_co_u32 v7, vcc_lo, v7, 1
	v_add_co_ci_u32_e64 v8, null, 0, v8, vcc_lo
	ds_write_b64 v18, v[7:8]
	s_branch .LBB37_6
.LBB37_21:
	s_or_b32 exec_lo, exec_lo, s18
.LBB37_22:
	s_mov_b32 s0, exec_lo
	v_cmpx_eq_u32_e32 0, v19
	s_cbranch_execz .LBB37_25
; %bb.23:
	s_clause 0x1
	s_load_dword s2, s[4:5], 0x40
	s_load_dwordx2 s[0:1], s[4:5], 0x48
	v_mov_b32_e32 v1, 0
	s_waitcnt lgkmcnt(0)
	v_mov_b32_e32 v0, s2
	global_store_dwordx2 v1, v[0:1], s[0:1]
	v_lshl_or_b32 v0, s6, 3, v17
	v_cmp_gt_i64_e32 vcc_lo, s[8:9], v[0:1]
	s_and_b32 exec_lo, exec_lo, vcc_lo
	s_cbranch_execz .LBB37_25
; %bb.24:
	ds_read_b64 v[2:3], v18
	v_add_nc_u32_e32 v0, 1, v0
	v_lshlrev_b64 v[0:1], 3, v[0:1]
	v_add_co_u32 v0, vcc_lo, s0, v0
	v_add_co_ci_u32_e64 v1, null, s1, v1, vcc_lo
	s_waitcnt lgkmcnt(0)
	global_store_dwordx2 v[0:1], v[2:3], off
.LBB37_25:
	s_endpgm
	.section	.rodata,"a",@progbits
	.p2align	6, 0x0
	.amdhsa_kernel _ZN9rocsparseL46csr2bsr_nnz_wavefront_per_row_multipass_kernelILj256ELj32ELj8EllEEvT3_S1_S1_S1_S1_21rocsparse_index_base_PKT2_PKS1_S2_PS3_
		.amdhsa_group_segment_fixed_size 72
		.amdhsa_private_segment_fixed_size 0
		.amdhsa_kernarg_size 80
		.amdhsa_user_sgpr_count 6
		.amdhsa_user_sgpr_private_segment_buffer 1
		.amdhsa_user_sgpr_dispatch_ptr 0
		.amdhsa_user_sgpr_queue_ptr 0
		.amdhsa_user_sgpr_kernarg_segment_ptr 1
		.amdhsa_user_sgpr_dispatch_id 0
		.amdhsa_user_sgpr_flat_scratch_init 0
		.amdhsa_user_sgpr_private_segment_size 0
		.amdhsa_wavefront_size32 1
		.amdhsa_uses_dynamic_stack 0
		.amdhsa_system_sgpr_private_segment_wavefront_offset 0
		.amdhsa_system_sgpr_workgroup_id_x 1
		.amdhsa_system_sgpr_workgroup_id_y 0
		.amdhsa_system_sgpr_workgroup_id_z 0
		.amdhsa_system_sgpr_workgroup_info 0
		.amdhsa_system_vgpr_workitem_id 0
		.amdhsa_next_free_vgpr 36
		.amdhsa_next_free_sgpr 32
		.amdhsa_reserve_vcc 1
		.amdhsa_reserve_flat_scratch 0
		.amdhsa_float_round_mode_32 0
		.amdhsa_float_round_mode_16_64 0
		.amdhsa_float_denorm_mode_32 3
		.amdhsa_float_denorm_mode_16_64 3
		.amdhsa_dx10_clamp 1
		.amdhsa_ieee_mode 1
		.amdhsa_fp16_overflow 0
		.amdhsa_workgroup_processor_mode 1
		.amdhsa_memory_ordered 1
		.amdhsa_forward_progress 1
		.amdhsa_shared_vgpr_count 0
		.amdhsa_exception_fp_ieee_invalid_op 0
		.amdhsa_exception_fp_denorm_src 0
		.amdhsa_exception_fp_ieee_div_zero 0
		.amdhsa_exception_fp_ieee_overflow 0
		.amdhsa_exception_fp_ieee_underflow 0
		.amdhsa_exception_fp_ieee_inexact 0
		.amdhsa_exception_int_div_zero 0
	.end_amdhsa_kernel
	.section	.text._ZN9rocsparseL46csr2bsr_nnz_wavefront_per_row_multipass_kernelILj256ELj32ELj8EllEEvT3_S1_S1_S1_S1_21rocsparse_index_base_PKT2_PKS1_S2_PS3_,"axG",@progbits,_ZN9rocsparseL46csr2bsr_nnz_wavefront_per_row_multipass_kernelILj256ELj32ELj8EllEEvT3_S1_S1_S1_S1_21rocsparse_index_base_PKT2_PKS1_S2_PS3_,comdat
.Lfunc_end37:
	.size	_ZN9rocsparseL46csr2bsr_nnz_wavefront_per_row_multipass_kernelILj256ELj32ELj8EllEEvT3_S1_S1_S1_S1_21rocsparse_index_base_PKT2_PKS1_S2_PS3_, .Lfunc_end37-_ZN9rocsparseL46csr2bsr_nnz_wavefront_per_row_multipass_kernelILj256ELj32ELj8EllEEvT3_S1_S1_S1_S1_21rocsparse_index_base_PKT2_PKS1_S2_PS3_
                                        ; -- End function
	.set _ZN9rocsparseL46csr2bsr_nnz_wavefront_per_row_multipass_kernelILj256ELj32ELj8EllEEvT3_S1_S1_S1_S1_21rocsparse_index_base_PKT2_PKS1_S2_PS3_.num_vgpr, 36
	.set _ZN9rocsparseL46csr2bsr_nnz_wavefront_per_row_multipass_kernelILj256ELj32ELj8EllEEvT3_S1_S1_S1_S1_21rocsparse_index_base_PKT2_PKS1_S2_PS3_.num_agpr, 0
	.set _ZN9rocsparseL46csr2bsr_nnz_wavefront_per_row_multipass_kernelILj256ELj32ELj8EllEEvT3_S1_S1_S1_S1_21rocsparse_index_base_PKT2_PKS1_S2_PS3_.numbered_sgpr, 32
	.set _ZN9rocsparseL46csr2bsr_nnz_wavefront_per_row_multipass_kernelILj256ELj32ELj8EllEEvT3_S1_S1_S1_S1_21rocsparse_index_base_PKT2_PKS1_S2_PS3_.num_named_barrier, 0
	.set _ZN9rocsparseL46csr2bsr_nnz_wavefront_per_row_multipass_kernelILj256ELj32ELj8EllEEvT3_S1_S1_S1_S1_21rocsparse_index_base_PKT2_PKS1_S2_PS3_.private_seg_size, 0
	.set _ZN9rocsparseL46csr2bsr_nnz_wavefront_per_row_multipass_kernelILj256ELj32ELj8EllEEvT3_S1_S1_S1_S1_21rocsparse_index_base_PKT2_PKS1_S2_PS3_.uses_vcc, 1
	.set _ZN9rocsparseL46csr2bsr_nnz_wavefront_per_row_multipass_kernelILj256ELj32ELj8EllEEvT3_S1_S1_S1_S1_21rocsparse_index_base_PKT2_PKS1_S2_PS3_.uses_flat_scratch, 0
	.set _ZN9rocsparseL46csr2bsr_nnz_wavefront_per_row_multipass_kernelILj256ELj32ELj8EllEEvT3_S1_S1_S1_S1_21rocsparse_index_base_PKT2_PKS1_S2_PS3_.has_dyn_sized_stack, 0
	.set _ZN9rocsparseL46csr2bsr_nnz_wavefront_per_row_multipass_kernelILj256ELj32ELj8EllEEvT3_S1_S1_S1_S1_21rocsparse_index_base_PKT2_PKS1_S2_PS3_.has_recursion, 0
	.set _ZN9rocsparseL46csr2bsr_nnz_wavefront_per_row_multipass_kernelILj256ELj32ELj8EllEEvT3_S1_S1_S1_S1_21rocsparse_index_base_PKT2_PKS1_S2_PS3_.has_indirect_call, 0
	.section	.AMDGPU.csdata,"",@progbits
; Kernel info:
; codeLenInByte = 2040
; TotalNumSgprs: 34
; NumVgprs: 36
; ScratchSize: 0
; MemoryBound: 0
; FloatMode: 240
; IeeeMode: 1
; LDSByteSize: 72 bytes/workgroup (compile time only)
; SGPRBlocks: 0
; VGPRBlocks: 4
; NumSGPRsForWavesPerEU: 34
; NumVGPRsForWavesPerEU: 36
; Occupancy: 16
; WaveLimiterHint : 0
; COMPUTE_PGM_RSRC2:SCRATCH_EN: 0
; COMPUTE_PGM_RSRC2:USER_SGPR: 6
; COMPUTE_PGM_RSRC2:TRAP_HANDLER: 0
; COMPUTE_PGM_RSRC2:TGID_X_EN: 1
; COMPUTE_PGM_RSRC2:TGID_Y_EN: 0
; COMPUTE_PGM_RSRC2:TGID_Z_EN: 0
; COMPUTE_PGM_RSRC2:TIDIG_COMP_CNT: 0
	.section	.text._ZN9rocsparseL46csr2bsr_nnz_wavefront_per_row_multipass_kernelILj256ELj64ELj16EllEEvT3_S1_S1_S1_S1_21rocsparse_index_base_PKT2_PKS1_S2_PS3_,"axG",@progbits,_ZN9rocsparseL46csr2bsr_nnz_wavefront_per_row_multipass_kernelILj256ELj64ELj16EllEEvT3_S1_S1_S1_S1_21rocsparse_index_base_PKT2_PKS1_S2_PS3_,comdat
	.globl	_ZN9rocsparseL46csr2bsr_nnz_wavefront_per_row_multipass_kernelILj256ELj64ELj16EllEEvT3_S1_S1_S1_S1_21rocsparse_index_base_PKT2_PKS1_S2_PS3_ ; -- Begin function _ZN9rocsparseL46csr2bsr_nnz_wavefront_per_row_multipass_kernelILj256ELj64ELj16EllEEvT3_S1_S1_S1_S1_21rocsparse_index_base_PKT2_PKS1_S2_PS3_
	.p2align	8
	.type	_ZN9rocsparseL46csr2bsr_nnz_wavefront_per_row_multipass_kernelILj256ELj64ELj16EllEEvT3_S1_S1_S1_S1_21rocsparse_index_base_PKT2_PKS1_S2_PS3_,@function
_ZN9rocsparseL46csr2bsr_nnz_wavefront_per_row_multipass_kernelILj256ELj64ELj16EllEEvT3_S1_S1_S1_S1_21rocsparse_index_base_PKT2_PKS1_S2_PS3_: ; @_ZN9rocsparseL46csr2bsr_nnz_wavefront_per_row_multipass_kernelILj256ELj64ELj16EllEEvT3_S1_S1_S1_S1_21rocsparse_index_base_PKT2_PKS1_S2_PS3_
; %bb.0:
	s_load_dwordx2 s[2:3], s[4:5], 0x20
	v_lshrrev_b32_e32 v17, 6, v0
	s_ashr_i32 s7, s6, 31
	s_clause 0x1
	s_load_dwordx2 s[14:15], s[4:5], 0x0
	s_load_dwordx4 s[8:11], s[4:5], 0x10
	s_lshl_b64 s[0:1], s[6:7], 2
	v_mov_b32_e32 v2, 0
	v_or_b32_e32 v3, s0, v17
	v_bfe_u32 v1, v0, 2, 4
	s_clause 0x1
	s_load_dword s7, s[4:5], 0x28
	s_load_dwordx2 s[12:13], s[4:5], 0x30
	v_mov_b32_e32 v9, 0
	v_mov_b32_e32 v6, v2
	v_lshlrev_b32_e32 v18, 3, v17
	v_mov_b32_e32 v10, 0
	s_waitcnt lgkmcnt(0)
	v_mul_lo_u32 v5, v3, s3
	v_mad_u64_u32 v[3:4], null, v3, s2, v[1:2]
	s_mul_i32 s0, s1, s2
	v_add3_u32 v4, s0, v4, v5
	v_cmp_gt_i64_e64 s0, s[2:3], v[1:2]
	v_mov_b32_e32 v5, v2
	v_mov_b32_e32 v1, 0
	;; [unrolled: 1-line block ×3, first 2 shown]
	v_cmp_gt_i64_e32 vcc_lo, s[14:15], v[3:4]
	ds_write_b64 v18, v[5:6]
	s_waitcnt lgkmcnt(0)
	s_barrier
	buffer_gl0_inv
	s_and_b32 s0, s0, vcc_lo
	s_and_saveexec_b32 s1, s0
	s_cbranch_execz .LBB38_2
; %bb.1:
	v_lshlrev_b64 v[5:6], 3, v[3:4]
	v_add_co_u32 v5, vcc_lo, s12, v5
	v_add_co_ci_u32_e64 v6, null, s13, v6, vcc_lo
	global_load_dwordx2 v[5:6], v[5:6], off
	s_waitcnt vmcnt(0)
	v_sub_co_u32 v9, vcc_lo, v5, s7
	v_subrev_co_ci_u32_e64 v10, null, 0, v6, vcc_lo
.LBB38_2:
	s_or_b32 exec_lo, exec_lo, s1
	s_and_saveexec_b32 s1, s0
	s_cbranch_execz .LBB38_4
; %bb.3:
	v_lshlrev_b64 v[1:2], 3, v[3:4]
	v_add_co_u32 v1, vcc_lo, s12, v1
	v_add_co_ci_u32_e64 v2, null, s13, v2, vcc_lo
	global_load_dwordx2 v[1:2], v[1:2], off offset:8
	s_waitcnt vmcnt(0)
	v_sub_co_u32 v1, vcc_lo, v1, s7
	v_subrev_co_ci_u32_e64 v2, null, 0, v2, vcc_lo
.LBB38_4:
	s_or_b32 exec_lo, exec_lo, s1
	v_cmp_lt_i64_e64 s0, s[10:11], 1
	v_and_b32_e32 v19, 63, v0
	s_and_b32 vcc_lo, exec_lo, s0
	v_cmp_eq_u32_e64 s0, 0, v19
	s_cbranch_vccnz .LBB38_22
; %bb.5:
	v_mbcnt_lo_u32_b32 v4, -1, 0
	s_load_dwordx2 s[12:13], s[4:5], 0x38
	v_and_b32_e32 v0, 3, v0
	v_mov_b32_e32 v3, 0
	v_bfrev_b32_e32 v27, 0.5
	v_xor_b32_e32 v5, 2, v4
	v_xor_b32_e32 v6, 1, v4
	v_or_b32_e32 v7, 32, v4
	v_xor_b32_e32 v8, 16, v4
	v_xor_b32_e32 v11, 8, v4
	v_cmp_gt_i32_e32 vcc_lo, 32, v5
	v_lshl_or_b32 v22, v4, 2, 12
	v_mov_b32_e32 v28, 1
	s_mov_b32 s18, 0
	s_ashr_i32 s14, s3, 31
	v_cndmask_b32_e32 v5, v4, v5, vcc_lo
	v_cmp_gt_i32_e32 vcc_lo, 32, v6
	s_sub_i32 s19, 0, s2
	v_lshlrev_b32_e32 v20, 2, v5
	v_cndmask_b32_e32 v6, v4, v6, vcc_lo
	v_cmp_gt_i32_e32 vcc_lo, 32, v7
	v_lshlrev_b32_e32 v21, 2, v6
	v_cndmask_b32_e32 v5, v4, v7, vcc_lo
	v_cmp_gt_i32_e32 vcc_lo, 32, v8
	v_xor_b32_e32 v6, 4, v4
	v_lshlrev_b32_e32 v23, 2, v5
	v_cndmask_b32_e32 v7, v4, v8, vcc_lo
	v_cmp_gt_i32_e32 vcc_lo, 32, v11
	v_lshlrev_b32_e32 v24, 2, v7
	v_cndmask_b32_e32 v8, v4, v11, vcc_lo
	v_cmp_gt_i32_e32 vcc_lo, 32, v6
	v_lshlrev_b32_e32 v25, 2, v8
	v_cndmask_b32_e32 v6, v4, v6, vcc_lo
	v_mov_b32_e32 v7, 0
	v_mov_b32_e32 v8, 0
	v_lshlrev_b32_e32 v26, 2, v6
	s_branch .LBB38_7
.LBB38_6:                               ;   in Loop: Header=BB38_7 Depth=1
	s_or_b32 exec_lo, exec_lo, s1
	ds_bpermute_b32 v7, v23, v5
	ds_bpermute_b32 v8, v23, v6
	s_waitcnt lgkmcnt(0)
	buffer_gl0_inv
	v_cmp_lt_i64_e32 vcc_lo, v[7:8], v[5:6]
	v_cndmask_b32_e32 v6, v6, v8, vcc_lo
	v_cndmask_b32_e32 v5, v5, v7, vcc_lo
	ds_bpermute_b32 v8, v24, v6
	ds_bpermute_b32 v7, v24, v5
	s_waitcnt lgkmcnt(0)
	v_cmp_lt_i64_e32 vcc_lo, v[7:8], v[5:6]
	v_cndmask_b32_e32 v6, v6, v8, vcc_lo
	v_cndmask_b32_e32 v5, v5, v7, vcc_lo
	ds_bpermute_b32 v8, v25, v6
	ds_bpermute_b32 v7, v25, v5
	s_waitcnt lgkmcnt(0)
	;; [unrolled: 6-line block ×6, first 2 shown]
	v_cmp_le_i64_e32 vcc_lo, s[10:11], v[7:8]
	s_or_b32 s18, vcc_lo, s18
	s_andn2_b32 exec_lo, exec_lo, s18
	s_cbranch_execz .LBB38_21
.LBB38_7:                               ; =>This Loop Header: Depth=1
                                        ;     Child Loop BB38_10 Depth 2
	v_add_co_u32 v9, vcc_lo, v9, v0
	v_mov_b32_e32 v5, s10
	v_mov_b32_e32 v16, v2
	v_add_co_ci_u32_e64 v10, null, 0, v10, vcc_lo
	v_mov_b32_e32 v6, s11
	v_mov_b32_e32 v15, v1
	s_mov_b32 s20, exec_lo
	ds_write_b8 v17, v3 offset:32
	s_waitcnt lgkmcnt(0)
	buffer_gl0_inv
	v_cmpx_lt_i64_e64 v[9:10], v[1:2]
	s_cbranch_execz .LBB38_19
; %bb.8:                                ;   in Loop: Header=BB38_7 Depth=1
	v_lshlrev_b64 v[11:12], 3, v[9:10]
	v_mov_b32_e32 v5, s10
	v_mov_b32_e32 v14, v2
	;; [unrolled: 1-line block ×4, first 2 shown]
	s_mov_b32 s21, 0
	v_add_co_u32 v11, vcc_lo, s12, v11
	v_add_co_ci_u32_e64 v12, null, s13, v12, vcc_lo
	s_branch .LBB38_10
.LBB38_9:                               ;   in Loop: Header=BB38_10 Depth=2
	s_or_b32 exec_lo, exec_lo, s1
	v_add_co_u32 v9, s1, v9, 4
	v_add_co_ci_u32_e64 v10, null, 0, v10, s1
	s_xor_b32 s15, vcc_lo, -1
	v_add_co_u32 v11, vcc_lo, v11, 32
	v_cmp_ge_i64_e64 s1, v[9:10], v[1:2]
	v_mov_b32_e32 v13, v15
	v_add_co_ci_u32_e64 v12, null, 0, v12, vcc_lo
	v_mov_b32_e32 v14, v16
	s_or_b32 s1, s15, s1
	s_and_b32 s1, exec_lo, s1
	s_or_b32 s21, s1, s21
	s_andn2_b32 exec_lo, exec_lo, s21
	s_cbranch_execz .LBB38_18
.LBB38_10:                              ;   Parent Loop BB38_7 Depth=1
                                        ; =>  This Inner Loop Header: Depth=2
	global_load_dwordx2 v[15:16], v[11:12], off
	s_mov_b32 s1, exec_lo
	s_waitcnt vmcnt(0)
	v_sub_co_u32 v29, vcc_lo, v15, s7
	v_subrev_co_ci_u32_e64 v30, null, 0, v16, vcc_lo
                                        ; implicit-def: $vgpr15_vgpr16
	v_or_b32_e32 v4, s3, v30
	v_cmpx_ne_u64_e32 0, v[3:4]
	s_xor_b32 s22, exec_lo, s1
	s_cbranch_execz .LBB38_12
; %bb.11:                               ;   in Loop: Header=BB38_10 Depth=2
	s_add_u32 s16, s2, s14
	s_mov_b32 s15, s14
	s_addc_u32 s17, s3, s14
	v_ashrrev_i32_e32 v33, 31, v30
	s_xor_b64 s[16:17], s[16:17], s[14:15]
	v_cvt_f32_u32_e32 v4, s16
	v_cvt_f32_u32_e32 v15, s17
	s_sub_u32 s1, 0, s16
	s_subb_u32 s24, 0, s17
	v_add_co_u32 v16, vcc_lo, v29, v33
	v_fmac_f32_e32 v4, 0x4f800000, v15
	v_xor_b32_e32 v34, v16, v33
	v_rcp_f32_e32 v4, v4
	v_mul_f32_e32 v4, 0x5f7ffffc, v4
	v_mul_f32_e32 v15, 0x2f800000, v4
	v_trunc_f32_e32 v15, v15
	v_fmac_f32_e32 v4, 0xcf800000, v15
	v_cvt_u32_f32_e32 v15, v15
	v_cvt_u32_f32_e32 v4, v4
	v_readfirstlane_b32 s15, v15
	v_readfirstlane_b32 s23, v4
	s_mul_i32 s25, s1, s15
	v_add_co_ci_u32_e64 v4, null, v30, v33, vcc_lo
	s_mul_hi_u32 s27, s1, s23
	s_mul_i32 s26, s24, s23
	s_add_i32 s25, s27, s25
	s_mul_i32 s28, s1, s23
	s_add_i32 s25, s25, s26
	s_mul_hi_u32 s27, s23, s28
	s_mul_i32 s30, s23, s25
	s_mul_hi_u32 s29, s15, s28
	s_mul_i32 s26, s15, s28
	s_mul_hi_u32 s28, s23, s25
	s_add_u32 s27, s27, s30
	s_addc_u32 s28, 0, s28
	s_mul_hi_u32 s31, s15, s25
	s_add_u32 s26, s27, s26
	s_mul_i32 s25, s15, s25
	s_addc_u32 s26, s28, s29
	s_addc_u32 s27, s31, 0
	s_add_u32 s25, s26, s25
	s_addc_u32 s26, 0, s27
	s_add_u32 s23, s23, s25
	s_cselect_b32 s25, -1, 0
	s_mul_hi_u32 s27, s1, s23
	s_cmp_lg_u32 s25, 0
	s_mul_i32 s25, s1, s23
	s_addc_u32 s15, s15, s26
	s_mul_i32 s24, s24, s23
	s_mul_i32 s1, s1, s15
	s_mul_hi_u32 s26, s23, s25
	s_add_i32 s1, s27, s1
	s_mul_hi_u32 s27, s15, s25
	s_add_i32 s1, s1, s24
	s_mul_i32 s24, s15, s25
	s_mul_i32 s29, s23, s1
	s_mul_hi_u32 s28, s23, s1
	s_add_u32 s26, s26, s29
	s_addc_u32 s28, 0, s28
	s_mul_hi_u32 s25, s15, s1
	s_add_u32 s24, s26, s24
	s_mul_i32 s1, s15, s1
	s_addc_u32 s24, s28, s27
	s_addc_u32 s25, s25, 0
	s_add_u32 s1, s24, s1
	s_addc_u32 s24, 0, s25
	s_add_u32 s1, s23, s1
	s_cselect_b32 s23, -1, 0
	v_xor_b32_e32 v4, v4, v33
	s_cmp_lg_u32 s23, 0
	v_mul_hi_u32 v35, v34, s1
	s_addc_u32 s15, s15, s24
	v_mad_u64_u32 v[15:16], null, v34, s15, 0
	v_mad_u64_u32 v[29:30], null, v4, s1, 0
	;; [unrolled: 1-line block ×3, first 2 shown]
	v_add_co_u32 v15, vcc_lo, v35, v15
	v_add_co_ci_u32_e64 v16, null, 0, v16, vcc_lo
	v_add_co_u32 v15, vcc_lo, v15, v29
	v_add_co_ci_u32_e32 v15, vcc_lo, v16, v30, vcc_lo
	v_add_co_ci_u32_e32 v16, vcc_lo, 0, v32, vcc_lo
	v_add_co_u32 v29, vcc_lo, v15, v31
	v_add_co_ci_u32_e64 v30, null, 0, v16, vcc_lo
	v_mul_lo_u32 v31, s17, v29
	v_mad_u64_u32 v[15:16], null, s16, v29, 0
	v_mul_lo_u32 v32, s16, v30
	v_sub_co_u32 v15, vcc_lo, v34, v15
	v_add3_u32 v16, v16, v32, v31
	v_add_co_u32 v32, s1, v29, 2
	v_add_co_ci_u32_e64 v34, null, 0, v30, s1
	v_sub_nc_u32_e32 v31, v4, v16
	v_sub_co_u32 v35, s1, v15, s16
	v_sub_co_ci_u32_e64 v4, null, v4, v16, vcc_lo
	v_subrev_co_ci_u32_e64 v31, null, s17, v31, vcc_lo
	v_cmp_le_u32_e32 vcc_lo, s16, v35
	v_subrev_co_ci_u32_e64 v31, null, 0, v31, s1
	v_cndmask_b32_e64 v16, 0, -1, vcc_lo
	v_cmp_le_u32_e32 vcc_lo, s17, v31
	v_cndmask_b32_e64 v35, 0, -1, vcc_lo
	v_cmp_le_u32_e32 vcc_lo, s16, v15
	;; [unrolled: 2-line block ×3, first 2 shown]
	v_cndmask_b32_e64 v36, 0, -1, vcc_lo
	v_cmp_eq_u32_e32 vcc_lo, s17, v31
	v_cndmask_b32_e32 v16, v35, v16, vcc_lo
	v_add_co_u32 v31, vcc_lo, v29, 1
	v_add_co_ci_u32_e64 v35, null, 0, v30, vcc_lo
	v_cmp_eq_u32_e32 vcc_lo, s17, v4
	v_cndmask_b32_e32 v4, v36, v15, vcc_lo
	v_cmp_ne_u32_e32 vcc_lo, 0, v16
	v_xor_b32_e32 v16, s14, v33
	v_cmp_ne_u32_e64 s1, 0, v4
	v_cndmask_b32_e32 v4, v31, v32, vcc_lo
	v_cndmask_b32_e32 v15, v35, v34, vcc_lo
	v_cndmask_b32_e64 v4, v29, v4, s1
	v_cndmask_b32_e64 v15, v30, v15, s1
	v_xor_b32_e32 v4, v4, v16
	v_xor_b32_e32 v29, v15, v16
	v_sub_co_u32 v15, vcc_lo, v4, v16
	v_sub_co_ci_u32_e64 v16, null, v29, v16, vcc_lo
                                        ; implicit-def: $vgpr29
.LBB38_12:                              ;   in Loop: Header=BB38_10 Depth=2
	s_andn2_saveexec_b32 s1, s22
	s_cbranch_execz .LBB38_14
; %bb.13:                               ;   in Loop: Header=BB38_10 Depth=2
	v_cvt_f32_u32_e32 v4, s2
	v_rcp_iflag_f32_e32 v4, v4
	v_mul_f32_e32 v4, 0x4f7ffffe, v4
	v_cvt_u32_f32_e32 v4, v4
	v_mul_lo_u32 v15, s19, v4
	v_mul_hi_u32 v15, v4, v15
	v_add_nc_u32_e32 v4, v4, v15
	v_mul_hi_u32 v4, v29, v4
	v_mul_lo_u32 v15, v4, s2
	v_add_nc_u32_e32 v16, 1, v4
	v_sub_nc_u32_e32 v15, v29, v15
	v_subrev_nc_u32_e32 v29, s2, v15
	v_cmp_le_u32_e32 vcc_lo, s2, v15
	v_cndmask_b32_e32 v15, v15, v29, vcc_lo
	v_cndmask_b32_e32 v4, v4, v16, vcc_lo
	v_cmp_le_u32_e32 vcc_lo, s2, v15
	v_add_nc_u32_e32 v16, 1, v4
	v_cndmask_b32_e32 v15, v4, v16, vcc_lo
	v_mov_b32_e32 v16, v3
.LBB38_14:                              ;   in Loop: Header=BB38_10 Depth=2
	s_or_b32 exec_lo, exec_lo, s1
	s_mov_b32 s15, exec_lo
	v_cmp_eq_u64_e32 vcc_lo, v[15:16], v[7:8]
	v_cmpx_ne_u64_e64 v[15:16], v[7:8]
	s_xor_b32 s15, exec_lo, s15
; %bb.15:                               ;   in Loop: Header=BB38_10 Depth=2
	v_cmp_lt_i64_e64 s1, v[15:16], v[5:6]
                                        ; implicit-def: $vgpr13_vgpr14
	v_cndmask_b32_e64 v6, v6, v16, s1
	v_cndmask_b32_e64 v5, v5, v15, s1
; %bb.16:                               ;   in Loop: Header=BB38_10 Depth=2
	s_or_saveexec_b32 s1, s15
	v_mov_b32_e32 v16, v10
	v_mov_b32_e32 v15, v9
	s_xor_b32 exec_lo, exec_lo, s1
	s_cbranch_execz .LBB38_9
; %bb.17:                               ;   in Loop: Header=BB38_10 Depth=2
	v_mov_b32_e32 v16, v14
	v_mov_b32_e32 v15, v13
	ds_write_b8 v17, v28 offset:32
	s_branch .LBB38_9
.LBB38_18:                              ;   in Loop: Header=BB38_7 Depth=1
	s_or_b32 exec_lo, exec_lo, s21
.LBB38_19:                              ;   in Loop: Header=BB38_7 Depth=1
	s_or_b32 exec_lo, exec_lo, s20
	ds_bpermute_b32 v7, v20, v15
	ds_bpermute_b32 v8, v20, v16
	s_waitcnt lgkmcnt(0)
	buffer_gl0_inv
	ds_read_u8 v4, v17 offset:32
	v_cmp_lt_i64_e32 vcc_lo, v[7:8], v[15:16]
	s_waitcnt lgkmcnt(0)
	v_and_b32_e32 v4, 1, v4
	v_cndmask_b32_e32 v8, v16, v8, vcc_lo
	v_cndmask_b32_e32 v7, v15, v7, vcc_lo
	ds_bpermute_b32 v10, v21, v8
	ds_bpermute_b32 v9, v21, v7
	s_waitcnt lgkmcnt(0)
	v_cmp_lt_i64_e32 vcc_lo, v[9:10], v[7:8]
	v_cndmask_b32_e32 v8, v8, v10, vcc_lo
	v_cndmask_b32_e32 v7, v7, v9, vcc_lo
	v_cmp_eq_u32_e32 vcc_lo, 1, v4
	ds_bpermute_b32 v10, v22, v8
	ds_bpermute_b32 v9, v22, v7
	s_and_b32 s15, s0, vcc_lo
	s_and_saveexec_b32 s1, s15
	s_cbranch_execz .LBB38_6
; %bb.20:                               ;   in Loop: Header=BB38_7 Depth=1
	ds_read_b64 v[7:8], v18
	s_waitcnt lgkmcnt(0)
	v_add_co_u32 v7, vcc_lo, v7, 1
	v_add_co_ci_u32_e64 v8, null, 0, v8, vcc_lo
	ds_write_b64 v18, v[7:8]
	s_branch .LBB38_6
.LBB38_21:
	s_or_b32 exec_lo, exec_lo, s18
.LBB38_22:
	s_mov_b32 s0, exec_lo
	v_cmpx_eq_u32_e32 0, v19
	s_cbranch_execz .LBB38_25
; %bb.23:
	s_clause 0x1
	s_load_dword s2, s[4:5], 0x40
	s_load_dwordx2 s[0:1], s[4:5], 0x48
	v_mov_b32_e32 v1, 0
	s_waitcnt lgkmcnt(0)
	v_mov_b32_e32 v0, s2
	global_store_dwordx2 v1, v[0:1], s[0:1]
	v_lshl_or_b32 v0, s6, 2, v17
	v_cmp_gt_i64_e32 vcc_lo, s[8:9], v[0:1]
	s_and_b32 exec_lo, exec_lo, vcc_lo
	s_cbranch_execz .LBB38_25
; %bb.24:
	ds_read_b64 v[2:3], v18
	v_add_nc_u32_e32 v0, 1, v0
	v_lshlrev_b64 v[0:1], 3, v[0:1]
	v_add_co_u32 v0, vcc_lo, s0, v0
	v_add_co_ci_u32_e64 v1, null, s1, v1, vcc_lo
	s_waitcnt lgkmcnt(0)
	global_store_dwordx2 v[0:1], v[2:3], off
.LBB38_25:
	s_endpgm
	.section	.rodata,"a",@progbits
	.p2align	6, 0x0
	.amdhsa_kernel _ZN9rocsparseL46csr2bsr_nnz_wavefront_per_row_multipass_kernelILj256ELj64ELj16EllEEvT3_S1_S1_S1_S1_21rocsparse_index_base_PKT2_PKS1_S2_PS3_
		.amdhsa_group_segment_fixed_size 40
		.amdhsa_private_segment_fixed_size 0
		.amdhsa_kernarg_size 80
		.amdhsa_user_sgpr_count 6
		.amdhsa_user_sgpr_private_segment_buffer 1
		.amdhsa_user_sgpr_dispatch_ptr 0
		.amdhsa_user_sgpr_queue_ptr 0
		.amdhsa_user_sgpr_kernarg_segment_ptr 1
		.amdhsa_user_sgpr_dispatch_id 0
		.amdhsa_user_sgpr_flat_scratch_init 0
		.amdhsa_user_sgpr_private_segment_size 0
		.amdhsa_wavefront_size32 1
		.amdhsa_uses_dynamic_stack 0
		.amdhsa_system_sgpr_private_segment_wavefront_offset 0
		.amdhsa_system_sgpr_workgroup_id_x 1
		.amdhsa_system_sgpr_workgroup_id_y 0
		.amdhsa_system_sgpr_workgroup_id_z 0
		.amdhsa_system_sgpr_workgroup_info 0
		.amdhsa_system_vgpr_workitem_id 0
		.amdhsa_next_free_vgpr 37
		.amdhsa_next_free_sgpr 32
		.amdhsa_reserve_vcc 1
		.amdhsa_reserve_flat_scratch 0
		.amdhsa_float_round_mode_32 0
		.amdhsa_float_round_mode_16_64 0
		.amdhsa_float_denorm_mode_32 3
		.amdhsa_float_denorm_mode_16_64 3
		.amdhsa_dx10_clamp 1
		.amdhsa_ieee_mode 1
		.amdhsa_fp16_overflow 0
		.amdhsa_workgroup_processor_mode 1
		.amdhsa_memory_ordered 1
		.amdhsa_forward_progress 1
		.amdhsa_shared_vgpr_count 0
		.amdhsa_exception_fp_ieee_invalid_op 0
		.amdhsa_exception_fp_denorm_src 0
		.amdhsa_exception_fp_ieee_div_zero 0
		.amdhsa_exception_fp_ieee_overflow 0
		.amdhsa_exception_fp_ieee_underflow 0
		.amdhsa_exception_fp_ieee_inexact 0
		.amdhsa_exception_int_div_zero 0
	.end_amdhsa_kernel
	.section	.text._ZN9rocsparseL46csr2bsr_nnz_wavefront_per_row_multipass_kernelILj256ELj64ELj16EllEEvT3_S1_S1_S1_S1_21rocsparse_index_base_PKT2_PKS1_S2_PS3_,"axG",@progbits,_ZN9rocsparseL46csr2bsr_nnz_wavefront_per_row_multipass_kernelILj256ELj64ELj16EllEEvT3_S1_S1_S1_S1_21rocsparse_index_base_PKT2_PKS1_S2_PS3_,comdat
.Lfunc_end38:
	.size	_ZN9rocsparseL46csr2bsr_nnz_wavefront_per_row_multipass_kernelILj256ELj64ELj16EllEEvT3_S1_S1_S1_S1_21rocsparse_index_base_PKT2_PKS1_S2_PS3_, .Lfunc_end38-_ZN9rocsparseL46csr2bsr_nnz_wavefront_per_row_multipass_kernelILj256ELj64ELj16EllEEvT3_S1_S1_S1_S1_21rocsparse_index_base_PKT2_PKS1_S2_PS3_
                                        ; -- End function
	.set _ZN9rocsparseL46csr2bsr_nnz_wavefront_per_row_multipass_kernelILj256ELj64ELj16EllEEvT3_S1_S1_S1_S1_21rocsparse_index_base_PKT2_PKS1_S2_PS3_.num_vgpr, 37
	.set _ZN9rocsparseL46csr2bsr_nnz_wavefront_per_row_multipass_kernelILj256ELj64ELj16EllEEvT3_S1_S1_S1_S1_21rocsparse_index_base_PKT2_PKS1_S2_PS3_.num_agpr, 0
	.set _ZN9rocsparseL46csr2bsr_nnz_wavefront_per_row_multipass_kernelILj256ELj64ELj16EllEEvT3_S1_S1_S1_S1_21rocsparse_index_base_PKT2_PKS1_S2_PS3_.numbered_sgpr, 32
	.set _ZN9rocsparseL46csr2bsr_nnz_wavefront_per_row_multipass_kernelILj256ELj64ELj16EllEEvT3_S1_S1_S1_S1_21rocsparse_index_base_PKT2_PKS1_S2_PS3_.num_named_barrier, 0
	.set _ZN9rocsparseL46csr2bsr_nnz_wavefront_per_row_multipass_kernelILj256ELj64ELj16EllEEvT3_S1_S1_S1_S1_21rocsparse_index_base_PKT2_PKS1_S2_PS3_.private_seg_size, 0
	.set _ZN9rocsparseL46csr2bsr_nnz_wavefront_per_row_multipass_kernelILj256ELj64ELj16EllEEvT3_S1_S1_S1_S1_21rocsparse_index_base_PKT2_PKS1_S2_PS3_.uses_vcc, 1
	.set _ZN9rocsparseL46csr2bsr_nnz_wavefront_per_row_multipass_kernelILj256ELj64ELj16EllEEvT3_S1_S1_S1_S1_21rocsparse_index_base_PKT2_PKS1_S2_PS3_.uses_flat_scratch, 0
	.set _ZN9rocsparseL46csr2bsr_nnz_wavefront_per_row_multipass_kernelILj256ELj64ELj16EllEEvT3_S1_S1_S1_S1_21rocsparse_index_base_PKT2_PKS1_S2_PS3_.has_dyn_sized_stack, 0
	.set _ZN9rocsparseL46csr2bsr_nnz_wavefront_per_row_multipass_kernelILj256ELj64ELj16EllEEvT3_S1_S1_S1_S1_21rocsparse_index_base_PKT2_PKS1_S2_PS3_.has_recursion, 0
	.set _ZN9rocsparseL46csr2bsr_nnz_wavefront_per_row_multipass_kernelILj256ELj64ELj16EllEEvT3_S1_S1_S1_S1_21rocsparse_index_base_PKT2_PKS1_S2_PS3_.has_indirect_call, 0
	.section	.AMDGPU.csdata,"",@progbits
; Kernel info:
; codeLenInByte = 2084
; TotalNumSgprs: 34
; NumVgprs: 37
; ScratchSize: 0
; MemoryBound: 0
; FloatMode: 240
; IeeeMode: 1
; LDSByteSize: 40 bytes/workgroup (compile time only)
; SGPRBlocks: 0
; VGPRBlocks: 4
; NumSGPRsForWavesPerEU: 34
; NumVGPRsForWavesPerEU: 37
; Occupancy: 16
; WaveLimiterHint : 0
; COMPUTE_PGM_RSRC2:SCRATCH_EN: 0
; COMPUTE_PGM_RSRC2:USER_SGPR: 6
; COMPUTE_PGM_RSRC2:TRAP_HANDLER: 0
; COMPUTE_PGM_RSRC2:TGID_X_EN: 1
; COMPUTE_PGM_RSRC2:TGID_Y_EN: 0
; COMPUTE_PGM_RSRC2:TGID_Z_EN: 0
; COMPUTE_PGM_RSRC2:TIDIG_COMP_CNT: 0
	.section	.text._ZN9rocsparseL46csr2bsr_nnz_wavefront_per_row_multipass_kernelILj256ELj32ELj16EllEEvT3_S1_S1_S1_S1_21rocsparse_index_base_PKT2_PKS1_S2_PS3_,"axG",@progbits,_ZN9rocsparseL46csr2bsr_nnz_wavefront_per_row_multipass_kernelILj256ELj32ELj16EllEEvT3_S1_S1_S1_S1_21rocsparse_index_base_PKT2_PKS1_S2_PS3_,comdat
	.globl	_ZN9rocsparseL46csr2bsr_nnz_wavefront_per_row_multipass_kernelILj256ELj32ELj16EllEEvT3_S1_S1_S1_S1_21rocsparse_index_base_PKT2_PKS1_S2_PS3_ ; -- Begin function _ZN9rocsparseL46csr2bsr_nnz_wavefront_per_row_multipass_kernelILj256ELj32ELj16EllEEvT3_S1_S1_S1_S1_21rocsparse_index_base_PKT2_PKS1_S2_PS3_
	.p2align	8
	.type	_ZN9rocsparseL46csr2bsr_nnz_wavefront_per_row_multipass_kernelILj256ELj32ELj16EllEEvT3_S1_S1_S1_S1_21rocsparse_index_base_PKT2_PKS1_S2_PS3_,@function
_ZN9rocsparseL46csr2bsr_nnz_wavefront_per_row_multipass_kernelILj256ELj32ELj16EllEEvT3_S1_S1_S1_S1_21rocsparse_index_base_PKT2_PKS1_S2_PS3_: ; @_ZN9rocsparseL46csr2bsr_nnz_wavefront_per_row_multipass_kernelILj256ELj32ELj16EllEEvT3_S1_S1_S1_S1_21rocsparse_index_base_PKT2_PKS1_S2_PS3_
; %bb.0:
	s_load_dwordx2 s[2:3], s[4:5], 0x20
	v_lshrrev_b32_e32 v17, 5, v0
	s_ashr_i32 s7, s6, 31
	s_clause 0x1
	s_load_dwordx2 s[14:15], s[4:5], 0x0
	s_load_dwordx4 s[8:11], s[4:5], 0x10
	s_lshl_b64 s[0:1], s[6:7], 3
	v_mov_b32_e32 v2, 0
	v_or_b32_e32 v3, s0, v17
	v_bfe_u32 v1, v0, 1, 4
	s_clause 0x1
	s_load_dword s7, s[4:5], 0x28
	s_load_dwordx2 s[12:13], s[4:5], 0x30
	v_mov_b32_e32 v9, 0
	v_mov_b32_e32 v6, v2
	v_lshlrev_b32_e32 v18, 3, v17
	v_mov_b32_e32 v10, 0
	s_waitcnt lgkmcnt(0)
	v_mul_lo_u32 v5, v3, s3
	v_mad_u64_u32 v[3:4], null, v3, s2, v[1:2]
	s_mul_i32 s0, s1, s2
	v_add3_u32 v4, s0, v4, v5
	v_cmp_gt_i64_e64 s0, s[2:3], v[1:2]
	v_mov_b32_e32 v5, v2
	v_mov_b32_e32 v1, 0
	;; [unrolled: 1-line block ×3, first 2 shown]
	v_cmp_gt_i64_e32 vcc_lo, s[14:15], v[3:4]
	ds_write_b64 v18, v[5:6]
	s_waitcnt lgkmcnt(0)
	s_barrier
	buffer_gl0_inv
	s_and_b32 s0, s0, vcc_lo
	s_and_saveexec_b32 s1, s0
	s_cbranch_execz .LBB39_2
; %bb.1:
	v_lshlrev_b64 v[5:6], 3, v[3:4]
	v_add_co_u32 v5, vcc_lo, s12, v5
	v_add_co_ci_u32_e64 v6, null, s13, v6, vcc_lo
	global_load_dwordx2 v[5:6], v[5:6], off
	s_waitcnt vmcnt(0)
	v_sub_co_u32 v9, vcc_lo, v5, s7
	v_subrev_co_ci_u32_e64 v10, null, 0, v6, vcc_lo
.LBB39_2:
	s_or_b32 exec_lo, exec_lo, s1
	s_and_saveexec_b32 s1, s0
	s_cbranch_execz .LBB39_4
; %bb.3:
	v_lshlrev_b64 v[1:2], 3, v[3:4]
	v_add_co_u32 v1, vcc_lo, s12, v1
	v_add_co_ci_u32_e64 v2, null, s13, v2, vcc_lo
	global_load_dwordx2 v[1:2], v[1:2], off offset:8
	s_waitcnt vmcnt(0)
	v_sub_co_u32 v1, vcc_lo, v1, s7
	v_subrev_co_ci_u32_e64 v2, null, 0, v2, vcc_lo
.LBB39_4:
	s_or_b32 exec_lo, exec_lo, s1
	v_cmp_lt_i64_e64 s0, s[10:11], 1
	v_and_b32_e32 v19, 31, v0
	s_and_b32 vcc_lo, exec_lo, s0
	v_cmp_eq_u32_e64 s0, 0, v19
	s_cbranch_vccnz .LBB39_22
; %bb.5:
	v_mbcnt_lo_u32_b32 v4, -1, 0
	s_load_dwordx2 s[12:13], s[4:5], 0x38
	v_and_b32_e32 v0, 1, v0
	v_mov_b32_e32 v3, 0
	v_mov_b32_e32 v26, 0x7c
	v_xor_b32_e32 v5, 1, v4
	v_xor_b32_e32 v6, 16, v4
	;; [unrolled: 1-line block ×5, first 2 shown]
	v_cmp_gt_i32_e32 vcc_lo, 32, v5
	v_lshl_or_b32 v21, v4, 2, 4
	v_mov_b32_e32 v27, 1
	s_mov_b32 s18, 0
	s_ashr_i32 s14, s3, 31
	v_cndmask_b32_e32 v5, v4, v5, vcc_lo
	v_cmp_gt_i32_e32 vcc_lo, 32, v6
	s_sub_i32 s19, 0, s2
	v_lshlrev_b32_e32 v20, 2, v5
	v_cndmask_b32_e32 v6, v4, v6, vcc_lo
	v_cmp_gt_i32_e32 vcc_lo, 32, v7
	v_lshlrev_b32_e32 v22, 2, v6
	v_cndmask_b32_e32 v7, v4, v7, vcc_lo
	v_cmp_gt_i32_e32 vcc_lo, 32, v8
	;; [unrolled: 3-line block ×3, first 2 shown]
	v_lshlrev_b32_e32 v24, 2, v5
	v_cndmask_b32_e32 v8, v4, v11, vcc_lo
	v_lshlrev_b32_e32 v25, 2, v8
	v_mov_b32_e32 v7, 0
	v_mov_b32_e32 v8, 0
	s_branch .LBB39_7
.LBB39_6:                               ;   in Loop: Header=BB39_7 Depth=1
	s_or_b32 exec_lo, exec_lo, s1
	ds_bpermute_b32 v7, v22, v5
	ds_bpermute_b32 v8, v22, v6
	s_waitcnt lgkmcnt(0)
	buffer_gl0_inv
	v_cmp_lt_i64_e32 vcc_lo, v[7:8], v[5:6]
	v_cndmask_b32_e32 v6, v6, v8, vcc_lo
	v_cndmask_b32_e32 v5, v5, v7, vcc_lo
	ds_bpermute_b32 v8, v23, v6
	ds_bpermute_b32 v7, v23, v5
	s_waitcnt lgkmcnt(0)
	v_cmp_lt_i64_e32 vcc_lo, v[7:8], v[5:6]
	v_cndmask_b32_e32 v6, v6, v8, vcc_lo
	v_cndmask_b32_e32 v5, v5, v7, vcc_lo
	ds_bpermute_b32 v8, v24, v6
	ds_bpermute_b32 v7, v24, v5
	s_waitcnt lgkmcnt(0)
	;; [unrolled: 6-line block ×5, first 2 shown]
	v_cmp_le_i64_e32 vcc_lo, s[10:11], v[7:8]
	s_or_b32 s18, vcc_lo, s18
	s_andn2_b32 exec_lo, exec_lo, s18
	s_cbranch_execz .LBB39_21
.LBB39_7:                               ; =>This Loop Header: Depth=1
                                        ;     Child Loop BB39_10 Depth 2
	v_add_co_u32 v9, vcc_lo, v9, v0
	v_mov_b32_e32 v5, s10
	v_mov_b32_e32 v16, v2
	v_add_co_ci_u32_e64 v10, null, 0, v10, vcc_lo
	v_mov_b32_e32 v6, s11
	v_mov_b32_e32 v15, v1
	s_mov_b32 s20, exec_lo
	ds_write_b8 v17, v3 offset:64
	s_waitcnt lgkmcnt(0)
	buffer_gl0_inv
	v_cmpx_lt_i64_e64 v[9:10], v[1:2]
	s_cbranch_execz .LBB39_19
; %bb.8:                                ;   in Loop: Header=BB39_7 Depth=1
	v_lshlrev_b64 v[11:12], 3, v[9:10]
	v_mov_b32_e32 v5, s10
	v_mov_b32_e32 v14, v2
	;; [unrolled: 1-line block ×4, first 2 shown]
	s_mov_b32 s21, 0
	v_add_co_u32 v11, vcc_lo, s12, v11
	v_add_co_ci_u32_e64 v12, null, s13, v12, vcc_lo
	s_branch .LBB39_10
.LBB39_9:                               ;   in Loop: Header=BB39_10 Depth=2
	s_or_b32 exec_lo, exec_lo, s1
	v_add_co_u32 v9, s1, v9, 2
	v_add_co_ci_u32_e64 v10, null, 0, v10, s1
	s_xor_b32 s15, vcc_lo, -1
	v_add_co_u32 v11, vcc_lo, v11, 16
	v_cmp_ge_i64_e64 s1, v[9:10], v[1:2]
	v_mov_b32_e32 v13, v15
	v_add_co_ci_u32_e64 v12, null, 0, v12, vcc_lo
	v_mov_b32_e32 v14, v16
	s_or_b32 s1, s15, s1
	s_and_b32 s1, exec_lo, s1
	s_or_b32 s21, s1, s21
	s_andn2_b32 exec_lo, exec_lo, s21
	s_cbranch_execz .LBB39_18
.LBB39_10:                              ;   Parent Loop BB39_7 Depth=1
                                        ; =>  This Inner Loop Header: Depth=2
	global_load_dwordx2 v[15:16], v[11:12], off
	s_mov_b32 s1, exec_lo
	s_waitcnt vmcnt(0)
	v_sub_co_u32 v28, vcc_lo, v15, s7
	v_subrev_co_ci_u32_e64 v29, null, 0, v16, vcc_lo
                                        ; implicit-def: $vgpr15_vgpr16
	v_or_b32_e32 v4, s3, v29
	v_cmpx_ne_u64_e32 0, v[3:4]
	s_xor_b32 s22, exec_lo, s1
	s_cbranch_execz .LBB39_12
; %bb.11:                               ;   in Loop: Header=BB39_10 Depth=2
	s_add_u32 s16, s2, s14
	s_mov_b32 s15, s14
	s_addc_u32 s17, s3, s14
	v_ashrrev_i32_e32 v32, 31, v29
	s_xor_b64 s[16:17], s[16:17], s[14:15]
	v_cvt_f32_u32_e32 v4, s16
	v_cvt_f32_u32_e32 v15, s17
	s_sub_u32 s1, 0, s16
	s_subb_u32 s24, 0, s17
	v_add_co_u32 v16, vcc_lo, v28, v32
	v_fmac_f32_e32 v4, 0x4f800000, v15
	v_xor_b32_e32 v33, v16, v32
	v_rcp_f32_e32 v4, v4
	v_mul_f32_e32 v4, 0x5f7ffffc, v4
	v_mul_f32_e32 v15, 0x2f800000, v4
	v_trunc_f32_e32 v15, v15
	v_fmac_f32_e32 v4, 0xcf800000, v15
	v_cvt_u32_f32_e32 v15, v15
	v_cvt_u32_f32_e32 v4, v4
	v_readfirstlane_b32 s15, v15
	v_readfirstlane_b32 s23, v4
	s_mul_i32 s25, s1, s15
	v_add_co_ci_u32_e64 v4, null, v29, v32, vcc_lo
	s_mul_hi_u32 s27, s1, s23
	s_mul_i32 s26, s24, s23
	s_add_i32 s25, s27, s25
	s_mul_i32 s28, s1, s23
	s_add_i32 s25, s25, s26
	s_mul_hi_u32 s27, s23, s28
	s_mul_i32 s30, s23, s25
	s_mul_hi_u32 s29, s15, s28
	s_mul_i32 s26, s15, s28
	s_mul_hi_u32 s28, s23, s25
	s_add_u32 s27, s27, s30
	s_addc_u32 s28, 0, s28
	s_mul_hi_u32 s31, s15, s25
	s_add_u32 s26, s27, s26
	s_mul_i32 s25, s15, s25
	s_addc_u32 s26, s28, s29
	s_addc_u32 s27, s31, 0
	s_add_u32 s25, s26, s25
	s_addc_u32 s26, 0, s27
	s_add_u32 s23, s23, s25
	s_cselect_b32 s25, -1, 0
	s_mul_hi_u32 s27, s1, s23
	s_cmp_lg_u32 s25, 0
	s_mul_i32 s25, s1, s23
	s_addc_u32 s15, s15, s26
	s_mul_i32 s24, s24, s23
	s_mul_i32 s1, s1, s15
	s_mul_hi_u32 s26, s23, s25
	s_add_i32 s1, s27, s1
	s_mul_hi_u32 s27, s15, s25
	s_add_i32 s1, s1, s24
	s_mul_i32 s24, s15, s25
	s_mul_i32 s29, s23, s1
	s_mul_hi_u32 s28, s23, s1
	s_add_u32 s26, s26, s29
	s_addc_u32 s28, 0, s28
	s_mul_hi_u32 s25, s15, s1
	s_add_u32 s24, s26, s24
	s_mul_i32 s1, s15, s1
	s_addc_u32 s24, s28, s27
	s_addc_u32 s25, s25, 0
	s_add_u32 s1, s24, s1
	s_addc_u32 s24, 0, s25
	s_add_u32 s1, s23, s1
	s_cselect_b32 s23, -1, 0
	v_xor_b32_e32 v4, v4, v32
	s_cmp_lg_u32 s23, 0
	v_mul_hi_u32 v34, v33, s1
	s_addc_u32 s15, s15, s24
	v_mad_u64_u32 v[15:16], null, v33, s15, 0
	v_mad_u64_u32 v[28:29], null, v4, s1, 0
	;; [unrolled: 1-line block ×3, first 2 shown]
	v_add_co_u32 v15, vcc_lo, v34, v15
	v_add_co_ci_u32_e64 v16, null, 0, v16, vcc_lo
	v_add_co_u32 v15, vcc_lo, v15, v28
	v_add_co_ci_u32_e32 v15, vcc_lo, v16, v29, vcc_lo
	v_add_co_ci_u32_e32 v16, vcc_lo, 0, v31, vcc_lo
	v_add_co_u32 v28, vcc_lo, v15, v30
	v_add_co_ci_u32_e64 v29, null, 0, v16, vcc_lo
	v_mul_lo_u32 v30, s17, v28
	v_mad_u64_u32 v[15:16], null, s16, v28, 0
	v_mul_lo_u32 v31, s16, v29
	v_sub_co_u32 v15, vcc_lo, v33, v15
	v_add3_u32 v16, v16, v31, v30
	v_add_co_u32 v31, s1, v28, 2
	v_add_co_ci_u32_e64 v33, null, 0, v29, s1
	v_sub_nc_u32_e32 v30, v4, v16
	v_sub_co_u32 v34, s1, v15, s16
	v_sub_co_ci_u32_e64 v4, null, v4, v16, vcc_lo
	v_subrev_co_ci_u32_e64 v30, null, s17, v30, vcc_lo
	v_cmp_le_u32_e32 vcc_lo, s16, v34
	v_subrev_co_ci_u32_e64 v30, null, 0, v30, s1
	v_cndmask_b32_e64 v16, 0, -1, vcc_lo
	v_cmp_le_u32_e32 vcc_lo, s17, v30
	v_cndmask_b32_e64 v34, 0, -1, vcc_lo
	v_cmp_le_u32_e32 vcc_lo, s16, v15
	;; [unrolled: 2-line block ×3, first 2 shown]
	v_cndmask_b32_e64 v35, 0, -1, vcc_lo
	v_cmp_eq_u32_e32 vcc_lo, s17, v30
	v_cndmask_b32_e32 v16, v34, v16, vcc_lo
	v_add_co_u32 v30, vcc_lo, v28, 1
	v_add_co_ci_u32_e64 v34, null, 0, v29, vcc_lo
	v_cmp_eq_u32_e32 vcc_lo, s17, v4
	v_cndmask_b32_e32 v4, v35, v15, vcc_lo
	v_cmp_ne_u32_e32 vcc_lo, 0, v16
	v_xor_b32_e32 v16, s14, v32
	v_cmp_ne_u32_e64 s1, 0, v4
	v_cndmask_b32_e32 v4, v30, v31, vcc_lo
	v_cndmask_b32_e32 v15, v34, v33, vcc_lo
	v_cndmask_b32_e64 v4, v28, v4, s1
	v_cndmask_b32_e64 v15, v29, v15, s1
	v_xor_b32_e32 v4, v4, v16
	v_xor_b32_e32 v28, v15, v16
	v_sub_co_u32 v15, vcc_lo, v4, v16
	v_sub_co_ci_u32_e64 v16, null, v28, v16, vcc_lo
                                        ; implicit-def: $vgpr28
.LBB39_12:                              ;   in Loop: Header=BB39_10 Depth=2
	s_andn2_saveexec_b32 s1, s22
	s_cbranch_execz .LBB39_14
; %bb.13:                               ;   in Loop: Header=BB39_10 Depth=2
	v_cvt_f32_u32_e32 v4, s2
	v_rcp_iflag_f32_e32 v4, v4
	v_mul_f32_e32 v4, 0x4f7ffffe, v4
	v_cvt_u32_f32_e32 v4, v4
	v_mul_lo_u32 v15, s19, v4
	v_mul_hi_u32 v15, v4, v15
	v_add_nc_u32_e32 v4, v4, v15
	v_mul_hi_u32 v4, v28, v4
	v_mul_lo_u32 v15, v4, s2
	v_add_nc_u32_e32 v16, 1, v4
	v_sub_nc_u32_e32 v15, v28, v15
	v_subrev_nc_u32_e32 v28, s2, v15
	v_cmp_le_u32_e32 vcc_lo, s2, v15
	v_cndmask_b32_e32 v15, v15, v28, vcc_lo
	v_cndmask_b32_e32 v4, v4, v16, vcc_lo
	v_cmp_le_u32_e32 vcc_lo, s2, v15
	v_add_nc_u32_e32 v16, 1, v4
	v_cndmask_b32_e32 v15, v4, v16, vcc_lo
	v_mov_b32_e32 v16, v3
.LBB39_14:                              ;   in Loop: Header=BB39_10 Depth=2
	s_or_b32 exec_lo, exec_lo, s1
	s_mov_b32 s15, exec_lo
	v_cmp_eq_u64_e32 vcc_lo, v[15:16], v[7:8]
	v_cmpx_ne_u64_e64 v[15:16], v[7:8]
	s_xor_b32 s15, exec_lo, s15
; %bb.15:                               ;   in Loop: Header=BB39_10 Depth=2
	v_cmp_lt_i64_e64 s1, v[15:16], v[5:6]
                                        ; implicit-def: $vgpr13_vgpr14
	v_cndmask_b32_e64 v6, v6, v16, s1
	v_cndmask_b32_e64 v5, v5, v15, s1
; %bb.16:                               ;   in Loop: Header=BB39_10 Depth=2
	s_or_saveexec_b32 s1, s15
	v_mov_b32_e32 v16, v10
	v_mov_b32_e32 v15, v9
	s_xor_b32 exec_lo, exec_lo, s1
	s_cbranch_execz .LBB39_9
; %bb.17:                               ;   in Loop: Header=BB39_10 Depth=2
	v_mov_b32_e32 v16, v14
	v_mov_b32_e32 v15, v13
	ds_write_b8 v17, v27 offset:64
	s_branch .LBB39_9
.LBB39_18:                              ;   in Loop: Header=BB39_7 Depth=1
	s_or_b32 exec_lo, exec_lo, s21
.LBB39_19:                              ;   in Loop: Header=BB39_7 Depth=1
	s_or_b32 exec_lo, exec_lo, s20
	ds_bpermute_b32 v7, v20, v15
	ds_bpermute_b32 v8, v20, v16
	s_waitcnt lgkmcnt(0)
	buffer_gl0_inv
	ds_read_u8 v4, v17 offset:64
	v_cmp_lt_i64_e32 vcc_lo, v[7:8], v[15:16]
	s_waitcnt lgkmcnt(0)
	v_and_b32_e32 v4, 1, v4
	v_cndmask_b32_e32 v8, v16, v8, vcc_lo
	v_cndmask_b32_e32 v7, v15, v7, vcc_lo
	v_cmp_eq_u32_e32 vcc_lo, 1, v4
	ds_bpermute_b32 v10, v21, v8
	ds_bpermute_b32 v9, v21, v7
	s_and_b32 s15, s0, vcc_lo
	s_and_saveexec_b32 s1, s15
	s_cbranch_execz .LBB39_6
; %bb.20:                               ;   in Loop: Header=BB39_7 Depth=1
	ds_read_b64 v[7:8], v18
	s_waitcnt lgkmcnt(0)
	v_add_co_u32 v7, vcc_lo, v7, 1
	v_add_co_ci_u32_e64 v8, null, 0, v8, vcc_lo
	ds_write_b64 v18, v[7:8]
	s_branch .LBB39_6
.LBB39_21:
	s_or_b32 exec_lo, exec_lo, s18
.LBB39_22:
	s_mov_b32 s0, exec_lo
	v_cmpx_eq_u32_e32 0, v19
	s_cbranch_execz .LBB39_25
; %bb.23:
	s_clause 0x1
	s_load_dword s2, s[4:5], 0x40
	s_load_dwordx2 s[0:1], s[4:5], 0x48
	v_mov_b32_e32 v1, 0
	s_waitcnt lgkmcnt(0)
	v_mov_b32_e32 v0, s2
	global_store_dwordx2 v1, v[0:1], s[0:1]
	v_lshl_or_b32 v0, s6, 3, v17
	v_cmp_gt_i64_e32 vcc_lo, s[8:9], v[0:1]
	s_and_b32 exec_lo, exec_lo, vcc_lo
	s_cbranch_execz .LBB39_25
; %bb.24:
	ds_read_b64 v[2:3], v18
	v_add_nc_u32_e32 v0, 1, v0
	v_lshlrev_b64 v[0:1], 3, v[0:1]
	v_add_co_u32 v0, vcc_lo, s0, v0
	v_add_co_ci_u32_e64 v1, null, s1, v1, vcc_lo
	s_waitcnt lgkmcnt(0)
	global_store_dwordx2 v[0:1], v[2:3], off
.LBB39_25:
	s_endpgm
	.section	.rodata,"a",@progbits
	.p2align	6, 0x0
	.amdhsa_kernel _ZN9rocsparseL46csr2bsr_nnz_wavefront_per_row_multipass_kernelILj256ELj32ELj16EllEEvT3_S1_S1_S1_S1_21rocsparse_index_base_PKT2_PKS1_S2_PS3_
		.amdhsa_group_segment_fixed_size 72
		.amdhsa_private_segment_fixed_size 0
		.amdhsa_kernarg_size 80
		.amdhsa_user_sgpr_count 6
		.amdhsa_user_sgpr_private_segment_buffer 1
		.amdhsa_user_sgpr_dispatch_ptr 0
		.amdhsa_user_sgpr_queue_ptr 0
		.amdhsa_user_sgpr_kernarg_segment_ptr 1
		.amdhsa_user_sgpr_dispatch_id 0
		.amdhsa_user_sgpr_flat_scratch_init 0
		.amdhsa_user_sgpr_private_segment_size 0
		.amdhsa_wavefront_size32 1
		.amdhsa_uses_dynamic_stack 0
		.amdhsa_system_sgpr_private_segment_wavefront_offset 0
		.amdhsa_system_sgpr_workgroup_id_x 1
		.amdhsa_system_sgpr_workgroup_id_y 0
		.amdhsa_system_sgpr_workgroup_id_z 0
		.amdhsa_system_sgpr_workgroup_info 0
		.amdhsa_system_vgpr_workitem_id 0
		.amdhsa_next_free_vgpr 36
		.amdhsa_next_free_sgpr 32
		.amdhsa_reserve_vcc 1
		.amdhsa_reserve_flat_scratch 0
		.amdhsa_float_round_mode_32 0
		.amdhsa_float_round_mode_16_64 0
		.amdhsa_float_denorm_mode_32 3
		.amdhsa_float_denorm_mode_16_64 3
		.amdhsa_dx10_clamp 1
		.amdhsa_ieee_mode 1
		.amdhsa_fp16_overflow 0
		.amdhsa_workgroup_processor_mode 1
		.amdhsa_memory_ordered 1
		.amdhsa_forward_progress 1
		.amdhsa_shared_vgpr_count 0
		.amdhsa_exception_fp_ieee_invalid_op 0
		.amdhsa_exception_fp_denorm_src 0
		.amdhsa_exception_fp_ieee_div_zero 0
		.amdhsa_exception_fp_ieee_overflow 0
		.amdhsa_exception_fp_ieee_underflow 0
		.amdhsa_exception_fp_ieee_inexact 0
		.amdhsa_exception_int_div_zero 0
	.end_amdhsa_kernel
	.section	.text._ZN9rocsparseL46csr2bsr_nnz_wavefront_per_row_multipass_kernelILj256ELj32ELj16EllEEvT3_S1_S1_S1_S1_21rocsparse_index_base_PKT2_PKS1_S2_PS3_,"axG",@progbits,_ZN9rocsparseL46csr2bsr_nnz_wavefront_per_row_multipass_kernelILj256ELj32ELj16EllEEvT3_S1_S1_S1_S1_21rocsparse_index_base_PKT2_PKS1_S2_PS3_,comdat
.Lfunc_end39:
	.size	_ZN9rocsparseL46csr2bsr_nnz_wavefront_per_row_multipass_kernelILj256ELj32ELj16EllEEvT3_S1_S1_S1_S1_21rocsparse_index_base_PKT2_PKS1_S2_PS3_, .Lfunc_end39-_ZN9rocsparseL46csr2bsr_nnz_wavefront_per_row_multipass_kernelILj256ELj32ELj16EllEEvT3_S1_S1_S1_S1_21rocsparse_index_base_PKT2_PKS1_S2_PS3_
                                        ; -- End function
	.set _ZN9rocsparseL46csr2bsr_nnz_wavefront_per_row_multipass_kernelILj256ELj32ELj16EllEEvT3_S1_S1_S1_S1_21rocsparse_index_base_PKT2_PKS1_S2_PS3_.num_vgpr, 36
	.set _ZN9rocsparseL46csr2bsr_nnz_wavefront_per_row_multipass_kernelILj256ELj32ELj16EllEEvT3_S1_S1_S1_S1_21rocsparse_index_base_PKT2_PKS1_S2_PS3_.num_agpr, 0
	.set _ZN9rocsparseL46csr2bsr_nnz_wavefront_per_row_multipass_kernelILj256ELj32ELj16EllEEvT3_S1_S1_S1_S1_21rocsparse_index_base_PKT2_PKS1_S2_PS3_.numbered_sgpr, 32
	.set _ZN9rocsparseL46csr2bsr_nnz_wavefront_per_row_multipass_kernelILj256ELj32ELj16EllEEvT3_S1_S1_S1_S1_21rocsparse_index_base_PKT2_PKS1_S2_PS3_.num_named_barrier, 0
	.set _ZN9rocsparseL46csr2bsr_nnz_wavefront_per_row_multipass_kernelILj256ELj32ELj16EllEEvT3_S1_S1_S1_S1_21rocsparse_index_base_PKT2_PKS1_S2_PS3_.private_seg_size, 0
	.set _ZN9rocsparseL46csr2bsr_nnz_wavefront_per_row_multipass_kernelILj256ELj32ELj16EllEEvT3_S1_S1_S1_S1_21rocsparse_index_base_PKT2_PKS1_S2_PS3_.uses_vcc, 1
	.set _ZN9rocsparseL46csr2bsr_nnz_wavefront_per_row_multipass_kernelILj256ELj32ELj16EllEEvT3_S1_S1_S1_S1_21rocsparse_index_base_PKT2_PKS1_S2_PS3_.uses_flat_scratch, 0
	.set _ZN9rocsparseL46csr2bsr_nnz_wavefront_per_row_multipass_kernelILj256ELj32ELj16EllEEvT3_S1_S1_S1_S1_21rocsparse_index_base_PKT2_PKS1_S2_PS3_.has_dyn_sized_stack, 0
	.set _ZN9rocsparseL46csr2bsr_nnz_wavefront_per_row_multipass_kernelILj256ELj32ELj16EllEEvT3_S1_S1_S1_S1_21rocsparse_index_base_PKT2_PKS1_S2_PS3_.has_recursion, 0
	.set _ZN9rocsparseL46csr2bsr_nnz_wavefront_per_row_multipass_kernelILj256ELj32ELj16EllEEvT3_S1_S1_S1_S1_21rocsparse_index_base_PKT2_PKS1_S2_PS3_.has_indirect_call, 0
	.section	.AMDGPU.csdata,"",@progbits
; Kernel info:
; codeLenInByte = 2008
; TotalNumSgprs: 34
; NumVgprs: 36
; ScratchSize: 0
; MemoryBound: 0
; FloatMode: 240
; IeeeMode: 1
; LDSByteSize: 72 bytes/workgroup (compile time only)
; SGPRBlocks: 0
; VGPRBlocks: 4
; NumSGPRsForWavesPerEU: 34
; NumVGPRsForWavesPerEU: 36
; Occupancy: 16
; WaveLimiterHint : 0
; COMPUTE_PGM_RSRC2:SCRATCH_EN: 0
; COMPUTE_PGM_RSRC2:USER_SGPR: 6
; COMPUTE_PGM_RSRC2:TRAP_HANDLER: 0
; COMPUTE_PGM_RSRC2:TGID_X_EN: 1
; COMPUTE_PGM_RSRC2:TGID_Y_EN: 0
; COMPUTE_PGM_RSRC2:TGID_Z_EN: 0
; COMPUTE_PGM_RSRC2:TIDIG_COMP_CNT: 0
	.section	.text._ZN9rocsparseL42csr2bsr_nnz_block_per_row_multipass_kernelILj256ELj32EllEEvT2_S1_S1_S1_S1_21rocsparse_index_base_PKT1_PKS1_S2_PS3_,"axG",@progbits,_ZN9rocsparseL42csr2bsr_nnz_block_per_row_multipass_kernelILj256ELj32EllEEvT2_S1_S1_S1_S1_21rocsparse_index_base_PKT1_PKS1_S2_PS3_,comdat
	.globl	_ZN9rocsparseL42csr2bsr_nnz_block_per_row_multipass_kernelILj256ELj32EllEEvT2_S1_S1_S1_S1_21rocsparse_index_base_PKT1_PKS1_S2_PS3_ ; -- Begin function _ZN9rocsparseL42csr2bsr_nnz_block_per_row_multipass_kernelILj256ELj32EllEEvT2_S1_S1_S1_S1_21rocsparse_index_base_PKT1_PKS1_S2_PS3_
	.p2align	8
	.type	_ZN9rocsparseL42csr2bsr_nnz_block_per_row_multipass_kernelILj256ELj32EllEEvT2_S1_S1_S1_S1_21rocsparse_index_base_PKT1_PKS1_S2_PS3_,@function
_ZN9rocsparseL42csr2bsr_nnz_block_per_row_multipass_kernelILj256ELj32EllEEvT2_S1_S1_S1_S1_21rocsparse_index_base_PKT1_PKS1_S2_PS3_: ; @_ZN9rocsparseL42csr2bsr_nnz_block_per_row_multipass_kernelILj256ELj32EllEEvT2_S1_S1_S1_S1_21rocsparse_index_base_PKT1_PKS1_S2_PS3_
; %bb.0:
	s_clause 0x1
	s_load_dwordx4 s[16:19], s[4:5], 0x18
	s_load_dwordx2 s[0:1], s[4:5], 0x0
	v_mov_b32_e32 v6, 0
	v_lshrrev_b32_e32 v5, 3, v0
	s_clause 0x1
	s_load_dword s13, s[4:5], 0x28
	s_load_dwordx2 s[2:3], s[4:5], 0x30
	s_ashr_i32 s7, s6, 31
	v_mov_b32_e32 v1, 0
	v_mov_b32_e32 v9, 0
	;; [unrolled: 1-line block ×6, first 2 shown]
	ds_write_b64 v6, v[7:8] offset:2048
	s_waitcnt lgkmcnt(0)
	s_barrier
	buffer_gl0_inv
	v_mad_u64_u32 v[3:4], null, s18, s6, v[5:6]
	s_mul_i32 s8, s19, s6
	s_mul_i32 s9, s18, s7
	v_add3_u32 v4, s9, s8, v4
	v_cmp_gt_i64_e32 vcc_lo, s[0:1], v[3:4]
	v_cmp_gt_i64_e64 s0, s[18:19], v[5:6]
	s_and_b32 s0, s0, vcc_lo
	s_and_saveexec_b32 s1, s0
	s_cbranch_execz .LBB40_2
; %bb.1:
	v_lshlrev_b64 v[5:6], 3, v[3:4]
	v_add_co_u32 v5, vcc_lo, s2, v5
	v_add_co_ci_u32_e64 v6, null, s3, v6, vcc_lo
	global_load_dwordx2 v[5:6], v[5:6], off
	s_waitcnt vmcnt(0)
	v_sub_co_u32 v9, vcc_lo, v5, s13
	v_subrev_co_ci_u32_e64 v10, null, 0, v6, vcc_lo
.LBB40_2:
	s_or_b32 exec_lo, exec_lo, s1
	s_and_saveexec_b32 s1, s0
	s_cbranch_execz .LBB40_4
; %bb.3:
	v_lshlrev_b64 v[1:2], 3, v[3:4]
	v_add_co_u32 v1, vcc_lo, s2, v1
	v_add_co_ci_u32_e64 v2, null, s3, v2, vcc_lo
	global_load_dwordx2 v[1:2], v[1:2], off offset:8
	s_waitcnt vmcnt(0)
	v_sub_co_u32 v1, vcc_lo, v1, s13
	v_subrev_co_ci_u32_e64 v2, null, 0, v2, vcc_lo
.LBB40_4:
	s_or_b32 exec_lo, exec_lo, s1
	v_cmp_lt_i64_e64 s0, s[16:17], 1
	s_and_b32 vcc_lo, exec_lo, s0
	v_cmp_eq_u32_e64 s0, 0, v0
	s_cbranch_vccnz .LBB40_37
; %bb.5:
	v_mbcnt_lo_u32_b32 v4, -1, 0
	s_load_dwordx2 s[14:15], s[4:5], 0x38
	v_and_b32_e32 v17, 7, v0
	v_lshlrev_b32_e32 v22, 3, v0
	v_cmp_gt_u32_e64 s1, 0x80, v0
	v_xor_b32_e32 v3, 4, v4
	v_xor_b32_e32 v5, 2, v4
	;; [unrolled: 1-line block ×3, first 2 shown]
	v_lshl_or_b32 v21, v4, 2, 28
	v_cmp_gt_u32_e64 s2, 64, v0
	v_cmp_gt_i32_e32 vcc_lo, 32, v3
	v_cmp_gt_u32_e64 s3, 32, v0
	v_cmp_gt_u32_e64 s8, 16, v0
	;; [unrolled: 1-line block ×4, first 2 shown]
	v_cndmask_b32_e32 v7, v4, v3, vcc_lo
	v_cmp_gt_i32_e32 vcc_lo, 32, v5
	v_mov_b32_e32 v3, 0
	v_cmp_gt_u32_e64 s11, 2, v0
	v_mov_b32_e32 v23, 1
	v_lshlrev_b32_e32 v18, 2, v7
	v_cndmask_b32_e32 v5, v4, v5, vcc_lo
	v_cmp_gt_i32_e32 vcc_lo, 32, v6
	v_mov_b32_e32 v7, 0
	v_mov_b32_e32 v8, 0
	s_ashr_i32 s20, s19, 31
	v_lshlrev_b32_e32 v19, 2, v5
	v_cndmask_b32_e32 v6, v4, v6, vcc_lo
	s_sub_i32 s24, 0, s18
	v_lshlrev_b32_e32 v20, 2, v6
	s_branch .LBB40_7
.LBB40_6:                               ;   in Loop: Header=BB40_7 Depth=1
	s_or_b32 exec_lo, exec_lo, s12
	s_waitcnt lgkmcnt(0)
	s_barrier
	buffer_gl0_inv
	ds_read_b64 v[7:8], v3
	s_waitcnt lgkmcnt(0)
	s_barrier
	buffer_gl0_inv
	v_cmp_gt_i64_e32 vcc_lo, s[16:17], v[7:8]
	s_cbranch_vccz .LBB40_37
.LBB40_7:                               ; =>This Loop Header: Depth=1
                                        ;     Child Loop BB40_10 Depth 2
	v_add_co_u32 v9, vcc_lo, v9, v17
	v_mov_b32_e32 v5, s16
	v_mov_b32_e32 v16, v2
	v_add_co_ci_u32_e64 v10, null, 0, v10, vcc_lo
	v_mov_b32_e32 v6, s17
	v_mov_b32_e32 v15, v1
	s_mov_b32 s25, exec_lo
	ds_write_b8 v3, v3 offset:2056
	s_waitcnt lgkmcnt(0)
	s_barrier
	buffer_gl0_inv
	v_cmpx_lt_i64_e64 v[9:10], v[1:2]
	s_cbranch_execz .LBB40_19
; %bb.8:                                ;   in Loop: Header=BB40_7 Depth=1
	v_lshlrev_b64 v[11:12], 3, v[9:10]
	v_mov_b32_e32 v5, s16
	v_mov_b32_e32 v14, v2
	;; [unrolled: 1-line block ×4, first 2 shown]
	s_mov_b32 s26, 0
	v_add_co_u32 v11, vcc_lo, s14, v11
	v_add_co_ci_u32_e64 v12, null, s15, v12, vcc_lo
	s_branch .LBB40_10
.LBB40_9:                               ;   in Loop: Header=BB40_10 Depth=2
	s_or_b32 exec_lo, exec_lo, s12
	v_add_co_u32 v9, s12, v9, 8
	v_add_co_ci_u32_e64 v10, null, 0, v10, s12
	s_xor_b32 s21, vcc_lo, -1
	v_add_co_u32 v11, vcc_lo, v11, 64
	v_cmp_ge_i64_e64 s12, v[9:10], v[1:2]
	v_mov_b32_e32 v13, v15
	v_add_co_ci_u32_e64 v12, null, 0, v12, vcc_lo
	v_mov_b32_e32 v14, v16
	s_or_b32 s12, s21, s12
	s_and_b32 s12, exec_lo, s12
	s_or_b32 s26, s12, s26
	s_andn2_b32 exec_lo, exec_lo, s26
	s_cbranch_execz .LBB40_18
.LBB40_10:                              ;   Parent Loop BB40_7 Depth=1
                                        ; =>  This Inner Loop Header: Depth=2
	global_load_dwordx2 v[15:16], v[11:12], off
	s_mov_b32 s12, exec_lo
	s_waitcnt vmcnt(0)
	v_sub_co_u32 v24, vcc_lo, v15, s13
	v_subrev_co_ci_u32_e64 v25, null, 0, v16, vcc_lo
                                        ; implicit-def: $vgpr15_vgpr16
	v_or_b32_e32 v4, s19, v25
	v_cmpx_ne_u64_e32 0, v[3:4]
	s_xor_b32 s27, exec_lo, s12
	s_cbranch_execz .LBB40_12
; %bb.11:                               ;   in Loop: Header=BB40_10 Depth=2
	s_add_u32 s22, s18, s20
	s_mov_b32 s21, s20
	s_addc_u32 s23, s19, s20
	v_ashrrev_i32_e32 v28, 31, v25
	s_xor_b64 s[22:23], s[22:23], s[20:21]
	v_cvt_f32_u32_e32 v4, s22
	v_cvt_f32_u32_e32 v15, s23
	s_sub_u32 s12, 0, s22
	s_subb_u32 s29, 0, s23
	v_add_co_u32 v16, vcc_lo, v24, v28
	v_fmac_f32_e32 v4, 0x4f800000, v15
	v_xor_b32_e32 v29, v16, v28
	v_rcp_f32_e32 v4, v4
	v_mul_f32_e32 v4, 0x5f7ffffc, v4
	v_mul_f32_e32 v15, 0x2f800000, v4
	v_trunc_f32_e32 v15, v15
	v_fmac_f32_e32 v4, 0xcf800000, v15
	v_cvt_u32_f32_e32 v15, v15
	v_cvt_u32_f32_e32 v4, v4
	v_readfirstlane_b32 s21, v15
	v_readfirstlane_b32 s28, v4
	s_mul_i32 s30, s12, s21
	v_add_co_ci_u32_e64 v4, null, v25, v28, vcc_lo
	s_mul_hi_u32 s33, s12, s28
	s_mul_i32 s31, s29, s28
	s_add_i32 s30, s33, s30
	s_mul_i32 s34, s12, s28
	s_add_i32 s30, s30, s31
	s_mul_hi_u32 s33, s28, s34
	s_mul_i32 s36, s28, s30
	s_mul_hi_u32 s35, s21, s34
	s_mul_i32 s31, s21, s34
	s_mul_hi_u32 s34, s28, s30
	s_add_u32 s33, s33, s36
	s_addc_u32 s34, 0, s34
	s_mul_hi_u32 s37, s21, s30
	s_add_u32 s31, s33, s31
	s_mul_i32 s30, s21, s30
	s_addc_u32 s31, s34, s35
	s_addc_u32 s33, s37, 0
	s_add_u32 s30, s31, s30
	s_addc_u32 s31, 0, s33
	s_add_u32 s28, s28, s30
	s_cselect_b32 s30, -1, 0
	s_mul_hi_u32 s33, s12, s28
	s_cmp_lg_u32 s30, 0
	s_mul_i32 s30, s12, s28
	s_addc_u32 s21, s21, s31
	s_mul_i32 s29, s29, s28
	s_mul_i32 s12, s12, s21
	s_mul_hi_u32 s31, s28, s30
	s_add_i32 s12, s33, s12
	s_mul_hi_u32 s33, s21, s30
	s_add_i32 s12, s12, s29
	s_mul_i32 s29, s21, s30
	s_mul_i32 s35, s28, s12
	s_mul_hi_u32 s34, s28, s12
	s_add_u32 s31, s31, s35
	s_addc_u32 s34, 0, s34
	s_mul_hi_u32 s30, s21, s12
	s_add_u32 s29, s31, s29
	s_mul_i32 s12, s21, s12
	s_addc_u32 s29, s34, s33
	s_addc_u32 s30, s30, 0
	s_add_u32 s12, s29, s12
	s_addc_u32 s29, 0, s30
	s_add_u32 s12, s28, s12
	s_cselect_b32 s28, -1, 0
	v_xor_b32_e32 v4, v4, v28
	s_cmp_lg_u32 s28, 0
	v_mul_hi_u32 v30, v29, s12
	s_addc_u32 s21, s21, s29
	v_mad_u64_u32 v[15:16], null, v29, s21, 0
	v_mad_u64_u32 v[24:25], null, v4, s12, 0
	;; [unrolled: 1-line block ×3, first 2 shown]
	v_add_co_u32 v15, vcc_lo, v30, v15
	v_add_co_ci_u32_e64 v16, null, 0, v16, vcc_lo
	v_add_co_u32 v15, vcc_lo, v15, v24
	v_add_co_ci_u32_e32 v15, vcc_lo, v16, v25, vcc_lo
	v_add_co_ci_u32_e32 v16, vcc_lo, 0, v27, vcc_lo
	v_add_co_u32 v24, vcc_lo, v15, v26
	v_add_co_ci_u32_e64 v25, null, 0, v16, vcc_lo
	v_mul_lo_u32 v26, s23, v24
	v_mad_u64_u32 v[15:16], null, s22, v24, 0
	v_mul_lo_u32 v27, s22, v25
	v_sub_co_u32 v15, vcc_lo, v29, v15
	v_add3_u32 v16, v16, v27, v26
	v_add_co_u32 v27, s12, v24, 2
	v_add_co_ci_u32_e64 v29, null, 0, v25, s12
	v_sub_nc_u32_e32 v26, v4, v16
	v_sub_co_u32 v30, s12, v15, s22
	v_sub_co_ci_u32_e64 v4, null, v4, v16, vcc_lo
	v_subrev_co_ci_u32_e64 v26, null, s23, v26, vcc_lo
	v_cmp_le_u32_e32 vcc_lo, s22, v30
	v_subrev_co_ci_u32_e64 v26, null, 0, v26, s12
	v_cndmask_b32_e64 v16, 0, -1, vcc_lo
	v_cmp_le_u32_e32 vcc_lo, s23, v26
	v_cndmask_b32_e64 v30, 0, -1, vcc_lo
	v_cmp_le_u32_e32 vcc_lo, s22, v15
	;; [unrolled: 2-line block ×3, first 2 shown]
	v_cndmask_b32_e64 v31, 0, -1, vcc_lo
	v_cmp_eq_u32_e32 vcc_lo, s23, v26
	v_cndmask_b32_e32 v16, v30, v16, vcc_lo
	v_add_co_u32 v26, vcc_lo, v24, 1
	v_add_co_ci_u32_e64 v30, null, 0, v25, vcc_lo
	v_cmp_eq_u32_e32 vcc_lo, s23, v4
	v_cndmask_b32_e32 v4, v31, v15, vcc_lo
	v_cmp_ne_u32_e32 vcc_lo, 0, v16
	v_xor_b32_e32 v16, s20, v28
	v_cmp_ne_u32_e64 s12, 0, v4
	v_cndmask_b32_e32 v4, v26, v27, vcc_lo
	v_cndmask_b32_e32 v15, v30, v29, vcc_lo
	v_cndmask_b32_e64 v4, v24, v4, s12
	v_cndmask_b32_e64 v15, v25, v15, s12
	v_xor_b32_e32 v4, v4, v16
	v_xor_b32_e32 v24, v15, v16
	v_sub_co_u32 v15, vcc_lo, v4, v16
	v_sub_co_ci_u32_e64 v16, null, v24, v16, vcc_lo
                                        ; implicit-def: $vgpr24
.LBB40_12:                              ;   in Loop: Header=BB40_10 Depth=2
	s_andn2_saveexec_b32 s12, s27
	s_cbranch_execz .LBB40_14
; %bb.13:                               ;   in Loop: Header=BB40_10 Depth=2
	v_cvt_f32_u32_e32 v4, s18
	v_rcp_iflag_f32_e32 v4, v4
	v_mul_f32_e32 v4, 0x4f7ffffe, v4
	v_cvt_u32_f32_e32 v4, v4
	v_mul_lo_u32 v15, s24, v4
	v_mul_hi_u32 v15, v4, v15
	v_add_nc_u32_e32 v4, v4, v15
	v_mul_hi_u32 v4, v24, v4
	v_mul_lo_u32 v15, v4, s18
	v_add_nc_u32_e32 v16, 1, v4
	v_sub_nc_u32_e32 v15, v24, v15
	v_subrev_nc_u32_e32 v24, s18, v15
	v_cmp_le_u32_e32 vcc_lo, s18, v15
	v_cndmask_b32_e32 v15, v15, v24, vcc_lo
	v_cndmask_b32_e32 v4, v4, v16, vcc_lo
	v_cmp_le_u32_e32 vcc_lo, s18, v15
	v_add_nc_u32_e32 v16, 1, v4
	v_cndmask_b32_e32 v15, v4, v16, vcc_lo
	v_mov_b32_e32 v16, v3
.LBB40_14:                              ;   in Loop: Header=BB40_10 Depth=2
	s_or_b32 exec_lo, exec_lo, s12
	s_mov_b32 s21, exec_lo
	v_cmp_eq_u64_e32 vcc_lo, v[15:16], v[7:8]
	v_cmpx_ne_u64_e64 v[15:16], v[7:8]
	s_xor_b32 s21, exec_lo, s21
; %bb.15:                               ;   in Loop: Header=BB40_10 Depth=2
	v_cmp_lt_i64_e64 s12, v[15:16], v[5:6]
                                        ; implicit-def: $vgpr13_vgpr14
	v_cndmask_b32_e64 v6, v6, v16, s12
	v_cndmask_b32_e64 v5, v5, v15, s12
; %bb.16:                               ;   in Loop: Header=BB40_10 Depth=2
	s_or_saveexec_b32 s12, s21
	v_mov_b32_e32 v16, v10
	v_mov_b32_e32 v15, v9
	s_xor_b32 exec_lo, exec_lo, s12
	s_cbranch_execz .LBB40_9
; %bb.17:                               ;   in Loop: Header=BB40_10 Depth=2
	v_mov_b32_e32 v16, v14
	v_mov_b32_e32 v15, v13
	ds_write_b8 v3, v23 offset:2056
	s_branch .LBB40_9
.LBB40_18:                              ;   in Loop: Header=BB40_7 Depth=1
	s_or_b32 exec_lo, exec_lo, s26
.LBB40_19:                              ;   in Loop: Header=BB40_7 Depth=1
	s_or_b32 exec_lo, exec_lo, s25
	ds_bpermute_b32 v7, v18, v15
	ds_bpermute_b32 v8, v18, v16
	s_waitcnt lgkmcnt(0)
	s_barrier
	buffer_gl0_inv
	ds_read_u8 v4, v3 offset:2056
	v_cmp_lt_i64_e32 vcc_lo, v[7:8], v[15:16]
	s_waitcnt lgkmcnt(0)
	v_readfirstlane_b32 s12, v4
	v_cndmask_b32_e32 v8, v16, v8, vcc_lo
	v_cndmask_b32_e32 v7, v15, v7, vcc_lo
	s_bitcmp1_b32 s12, 0
	ds_bpermute_b32 v10, v19, v8
	ds_bpermute_b32 v9, v19, v7
	s_cselect_b32 s12, -1, 0
	s_and_b32 s21, s0, s12
	s_waitcnt lgkmcnt(0)
	v_cmp_lt_i64_e32 vcc_lo, v[9:10], v[7:8]
	v_cndmask_b32_e32 v8, v8, v10, vcc_lo
	v_cndmask_b32_e32 v7, v7, v9, vcc_lo
	ds_bpermute_b32 v10, v20, v8
	ds_bpermute_b32 v9, v20, v7
	s_waitcnt lgkmcnt(0)
	v_cmp_lt_i64_e32 vcc_lo, v[9:10], v[7:8]
	v_cndmask_b32_e32 v8, v8, v10, vcc_lo
	v_cndmask_b32_e32 v7, v7, v9, vcc_lo
	ds_bpermute_b32 v10, v21, v8
	ds_bpermute_b32 v9, v21, v7
	s_and_saveexec_b32 s12, s21
	s_cbranch_execz .LBB40_21
; %bb.20:                               ;   in Loop: Header=BB40_7 Depth=1
	ds_read_b64 v[7:8], v3 offset:2048
	s_waitcnt lgkmcnt(0)
	v_add_co_u32 v7, vcc_lo, v7, 1
	v_add_co_ci_u32_e64 v8, null, 0, v8, vcc_lo
	ds_write_b64 v3, v[7:8] offset:2048
.LBB40_21:                              ;   in Loop: Header=BB40_7 Depth=1
	s_or_b32 exec_lo, exec_lo, s12
	ds_write_b64 v22, v[5:6]
	s_waitcnt lgkmcnt(0)
	s_barrier
	buffer_gl0_inv
	s_and_saveexec_b32 s12, s1
	s_cbranch_execz .LBB40_23
; %bb.22:                               ;   in Loop: Header=BB40_7 Depth=1
	ds_read2st64_b64 v[4:7], v22 offset1:2
	s_waitcnt lgkmcnt(0)
	v_cmp_lt_i64_e32 vcc_lo, v[6:7], v[4:5]
	v_cndmask_b32_e32 v5, v5, v7, vcc_lo
	v_cndmask_b32_e32 v4, v4, v6, vcc_lo
	ds_write_b64 v22, v[4:5]
.LBB40_23:                              ;   in Loop: Header=BB40_7 Depth=1
	s_or_b32 exec_lo, exec_lo, s12
	s_waitcnt lgkmcnt(0)
	s_barrier
	buffer_gl0_inv
	s_and_saveexec_b32 s12, s2
	s_cbranch_execz .LBB40_25
; %bb.24:                               ;   in Loop: Header=BB40_7 Depth=1
	ds_read2st64_b64 v[4:7], v22 offset1:1
	s_waitcnt lgkmcnt(0)
	v_cmp_lt_i64_e32 vcc_lo, v[6:7], v[4:5]
	v_cndmask_b32_e32 v5, v5, v7, vcc_lo
	v_cndmask_b32_e32 v4, v4, v6, vcc_lo
	ds_write_b64 v22, v[4:5]
.LBB40_25:                              ;   in Loop: Header=BB40_7 Depth=1
	s_or_b32 exec_lo, exec_lo, s12
	s_waitcnt lgkmcnt(0)
	s_barrier
	buffer_gl0_inv
	s_and_saveexec_b32 s12, s3
	s_cbranch_execz .LBB40_27
; %bb.26:                               ;   in Loop: Header=BB40_7 Depth=1
	ds_read2_b64 v[4:7], v22 offset1:32
	s_waitcnt lgkmcnt(0)
	v_cmp_lt_i64_e32 vcc_lo, v[6:7], v[4:5]
	v_cndmask_b32_e32 v5, v5, v7, vcc_lo
	v_cndmask_b32_e32 v4, v4, v6, vcc_lo
	ds_write_b64 v22, v[4:5]
.LBB40_27:                              ;   in Loop: Header=BB40_7 Depth=1
	s_or_b32 exec_lo, exec_lo, s12
	s_waitcnt lgkmcnt(0)
	s_barrier
	buffer_gl0_inv
	s_and_saveexec_b32 s12, s8
	s_cbranch_execz .LBB40_29
; %bb.28:                               ;   in Loop: Header=BB40_7 Depth=1
	ds_read2_b64 v[4:7], v22 offset1:16
	s_waitcnt lgkmcnt(0)
	v_cmp_lt_i64_e32 vcc_lo, v[6:7], v[4:5]
	v_cndmask_b32_e32 v5, v5, v7, vcc_lo
	v_cndmask_b32_e32 v4, v4, v6, vcc_lo
	ds_write_b64 v22, v[4:5]
.LBB40_29:                              ;   in Loop: Header=BB40_7 Depth=1
	;; [unrolled: 14-line block ×5, first 2 shown]
	s_or_b32 exec_lo, exec_lo, s12
	s_waitcnt lgkmcnt(0)
	s_barrier
	buffer_gl0_inv
	s_and_saveexec_b32 s12, s0
	s_cbranch_execz .LBB40_6
; %bb.36:                               ;   in Loop: Header=BB40_7 Depth=1
	ds_read_b128 v[4:7], v3
	s_waitcnt lgkmcnt(0)
	v_cmp_lt_i64_e32 vcc_lo, v[6:7], v[4:5]
	v_cndmask_b32_e32 v5, v5, v7, vcc_lo
	v_cndmask_b32_e32 v4, v4, v6, vcc_lo
	ds_write_b64 v3, v[4:5]
	s_branch .LBB40_6
.LBB40_37:
	s_mov_b32 s0, exec_lo
	v_cmpx_eq_u32_e32 0, v0
	s_cbranch_execz .LBB40_39
; %bb.38:
	s_clause 0x1
	s_load_dword s2, s[4:5], 0x40
	s_load_dwordx2 s[0:1], s[4:5], 0x48
	v_mov_b32_e32 v1, 0
	ds_read_b64 v[2:3], v1 offset:2048
	s_waitcnt lgkmcnt(0)
	v_mov_b32_e32 v0, s2
	s_lshl_b64 s[2:3], s[6:7], 3
	s_add_u32 s2, s0, s2
	s_addc_u32 s3, s1, s3
	global_store_dwordx2 v1, v[0:1], s[0:1]
	global_store_dwordx2 v1, v[2:3], s[2:3] offset:8
.LBB40_39:
	s_endpgm
	.section	.rodata,"a",@progbits
	.p2align	6, 0x0
	.amdhsa_kernel _ZN9rocsparseL42csr2bsr_nnz_block_per_row_multipass_kernelILj256ELj32EllEEvT2_S1_S1_S1_S1_21rocsparse_index_base_PKT1_PKS1_S2_PS3_
		.amdhsa_group_segment_fixed_size 2064
		.amdhsa_private_segment_fixed_size 0
		.amdhsa_kernarg_size 80
		.amdhsa_user_sgpr_count 6
		.amdhsa_user_sgpr_private_segment_buffer 1
		.amdhsa_user_sgpr_dispatch_ptr 0
		.amdhsa_user_sgpr_queue_ptr 0
		.amdhsa_user_sgpr_kernarg_segment_ptr 1
		.amdhsa_user_sgpr_dispatch_id 0
		.amdhsa_user_sgpr_flat_scratch_init 0
		.amdhsa_user_sgpr_private_segment_size 0
		.amdhsa_wavefront_size32 1
		.amdhsa_uses_dynamic_stack 0
		.amdhsa_system_sgpr_private_segment_wavefront_offset 0
		.amdhsa_system_sgpr_workgroup_id_x 1
		.amdhsa_system_sgpr_workgroup_id_y 0
		.amdhsa_system_sgpr_workgroup_id_z 0
		.amdhsa_system_sgpr_workgroup_info 0
		.amdhsa_system_vgpr_workitem_id 0
		.amdhsa_next_free_vgpr 32
		.amdhsa_next_free_sgpr 38
		.amdhsa_reserve_vcc 1
		.amdhsa_reserve_flat_scratch 0
		.amdhsa_float_round_mode_32 0
		.amdhsa_float_round_mode_16_64 0
		.amdhsa_float_denorm_mode_32 3
		.amdhsa_float_denorm_mode_16_64 3
		.amdhsa_dx10_clamp 1
		.amdhsa_ieee_mode 1
		.amdhsa_fp16_overflow 0
		.amdhsa_workgroup_processor_mode 1
		.amdhsa_memory_ordered 1
		.amdhsa_forward_progress 1
		.amdhsa_shared_vgpr_count 0
		.amdhsa_exception_fp_ieee_invalid_op 0
		.amdhsa_exception_fp_denorm_src 0
		.amdhsa_exception_fp_ieee_div_zero 0
		.amdhsa_exception_fp_ieee_overflow 0
		.amdhsa_exception_fp_ieee_underflow 0
		.amdhsa_exception_fp_ieee_inexact 0
		.amdhsa_exception_int_div_zero 0
	.end_amdhsa_kernel
	.section	.text._ZN9rocsparseL42csr2bsr_nnz_block_per_row_multipass_kernelILj256ELj32EllEEvT2_S1_S1_S1_S1_21rocsparse_index_base_PKT1_PKS1_S2_PS3_,"axG",@progbits,_ZN9rocsparseL42csr2bsr_nnz_block_per_row_multipass_kernelILj256ELj32EllEEvT2_S1_S1_S1_S1_21rocsparse_index_base_PKT1_PKS1_S2_PS3_,comdat
.Lfunc_end40:
	.size	_ZN9rocsparseL42csr2bsr_nnz_block_per_row_multipass_kernelILj256ELj32EllEEvT2_S1_S1_S1_S1_21rocsparse_index_base_PKT1_PKS1_S2_PS3_, .Lfunc_end40-_ZN9rocsparseL42csr2bsr_nnz_block_per_row_multipass_kernelILj256ELj32EllEEvT2_S1_S1_S1_S1_21rocsparse_index_base_PKT1_PKS1_S2_PS3_
                                        ; -- End function
	.set _ZN9rocsparseL42csr2bsr_nnz_block_per_row_multipass_kernelILj256ELj32EllEEvT2_S1_S1_S1_S1_21rocsparse_index_base_PKT1_PKS1_S2_PS3_.num_vgpr, 32
	.set _ZN9rocsparseL42csr2bsr_nnz_block_per_row_multipass_kernelILj256ELj32EllEEvT2_S1_S1_S1_S1_21rocsparse_index_base_PKT1_PKS1_S2_PS3_.num_agpr, 0
	.set _ZN9rocsparseL42csr2bsr_nnz_block_per_row_multipass_kernelILj256ELj32EllEEvT2_S1_S1_S1_S1_21rocsparse_index_base_PKT1_PKS1_S2_PS3_.numbered_sgpr, 38
	.set _ZN9rocsparseL42csr2bsr_nnz_block_per_row_multipass_kernelILj256ELj32EllEEvT2_S1_S1_S1_S1_21rocsparse_index_base_PKT1_PKS1_S2_PS3_.num_named_barrier, 0
	.set _ZN9rocsparseL42csr2bsr_nnz_block_per_row_multipass_kernelILj256ELj32EllEEvT2_S1_S1_S1_S1_21rocsparse_index_base_PKT1_PKS1_S2_PS3_.private_seg_size, 0
	.set _ZN9rocsparseL42csr2bsr_nnz_block_per_row_multipass_kernelILj256ELj32EllEEvT2_S1_S1_S1_S1_21rocsparse_index_base_PKT1_PKS1_S2_PS3_.uses_vcc, 1
	.set _ZN9rocsparseL42csr2bsr_nnz_block_per_row_multipass_kernelILj256ELj32EllEEvT2_S1_S1_S1_S1_21rocsparse_index_base_PKT1_PKS1_S2_PS3_.uses_flat_scratch, 0
	.set _ZN9rocsparseL42csr2bsr_nnz_block_per_row_multipass_kernelILj256ELj32EllEEvT2_S1_S1_S1_S1_21rocsparse_index_base_PKT1_PKS1_S2_PS3_.has_dyn_sized_stack, 0
	.set _ZN9rocsparseL42csr2bsr_nnz_block_per_row_multipass_kernelILj256ELj32EllEEvT2_S1_S1_S1_S1_21rocsparse_index_base_PKT1_PKS1_S2_PS3_.has_recursion, 0
	.set _ZN9rocsparseL42csr2bsr_nnz_block_per_row_multipass_kernelILj256ELj32EllEEvT2_S1_S1_S1_S1_21rocsparse_index_base_PKT1_PKS1_S2_PS3_.has_indirect_call, 0
	.section	.AMDGPU.csdata,"",@progbits
; Kernel info:
; codeLenInByte = 2352
; TotalNumSgprs: 40
; NumVgprs: 32
; ScratchSize: 0
; MemoryBound: 0
; FloatMode: 240
; IeeeMode: 1
; LDSByteSize: 2064 bytes/workgroup (compile time only)
; SGPRBlocks: 0
; VGPRBlocks: 3
; NumSGPRsForWavesPerEU: 40
; NumVGPRsForWavesPerEU: 32
; Occupancy: 16
; WaveLimiterHint : 0
; COMPUTE_PGM_RSRC2:SCRATCH_EN: 0
; COMPUTE_PGM_RSRC2:USER_SGPR: 6
; COMPUTE_PGM_RSRC2:TRAP_HANDLER: 0
; COMPUTE_PGM_RSRC2:TGID_X_EN: 1
; COMPUTE_PGM_RSRC2:TGID_Y_EN: 0
; COMPUTE_PGM_RSRC2:TGID_Z_EN: 0
; COMPUTE_PGM_RSRC2:TIDIG_COMP_CNT: 0
	.section	.text._ZN9rocsparseL42csr2bsr_nnz_block_per_row_multipass_kernelILj256ELj64EllEEvT2_S1_S1_S1_S1_21rocsparse_index_base_PKT1_PKS1_S2_PS3_,"axG",@progbits,_ZN9rocsparseL42csr2bsr_nnz_block_per_row_multipass_kernelILj256ELj64EllEEvT2_S1_S1_S1_S1_21rocsparse_index_base_PKT1_PKS1_S2_PS3_,comdat
	.globl	_ZN9rocsparseL42csr2bsr_nnz_block_per_row_multipass_kernelILj256ELj64EllEEvT2_S1_S1_S1_S1_21rocsparse_index_base_PKT1_PKS1_S2_PS3_ ; -- Begin function _ZN9rocsparseL42csr2bsr_nnz_block_per_row_multipass_kernelILj256ELj64EllEEvT2_S1_S1_S1_S1_21rocsparse_index_base_PKT1_PKS1_S2_PS3_
	.p2align	8
	.type	_ZN9rocsparseL42csr2bsr_nnz_block_per_row_multipass_kernelILj256ELj64EllEEvT2_S1_S1_S1_S1_21rocsparse_index_base_PKT1_PKS1_S2_PS3_,@function
_ZN9rocsparseL42csr2bsr_nnz_block_per_row_multipass_kernelILj256ELj64EllEEvT2_S1_S1_S1_S1_21rocsparse_index_base_PKT1_PKS1_S2_PS3_: ; @_ZN9rocsparseL42csr2bsr_nnz_block_per_row_multipass_kernelILj256ELj64EllEEvT2_S1_S1_S1_S1_21rocsparse_index_base_PKT1_PKS1_S2_PS3_
; %bb.0:
	s_clause 0x1
	s_load_dwordx4 s[16:19], s[4:5], 0x18
	s_load_dwordx2 s[0:1], s[4:5], 0x0
	v_mov_b32_e32 v6, 0
	v_lshrrev_b32_e32 v5, 2, v0
	s_clause 0x1
	s_load_dword s13, s[4:5], 0x28
	s_load_dwordx2 s[2:3], s[4:5], 0x30
	s_ashr_i32 s7, s6, 31
	v_mov_b32_e32 v1, 0
	v_mov_b32_e32 v9, 0
	;; [unrolled: 1-line block ×6, first 2 shown]
	ds_write_b64 v6, v[7:8] offset:2048
	s_waitcnt lgkmcnt(0)
	s_barrier
	buffer_gl0_inv
	v_mad_u64_u32 v[3:4], null, s18, s6, v[5:6]
	s_mul_i32 s8, s19, s6
	s_mul_i32 s9, s18, s7
	v_add3_u32 v4, s9, s8, v4
	v_cmp_gt_i64_e32 vcc_lo, s[0:1], v[3:4]
	v_cmp_gt_i64_e64 s0, s[18:19], v[5:6]
	s_and_b32 s0, s0, vcc_lo
	s_and_saveexec_b32 s1, s0
	s_cbranch_execz .LBB41_2
; %bb.1:
	v_lshlrev_b64 v[5:6], 3, v[3:4]
	v_add_co_u32 v5, vcc_lo, s2, v5
	v_add_co_ci_u32_e64 v6, null, s3, v6, vcc_lo
	global_load_dwordx2 v[5:6], v[5:6], off
	s_waitcnt vmcnt(0)
	v_sub_co_u32 v9, vcc_lo, v5, s13
	v_subrev_co_ci_u32_e64 v10, null, 0, v6, vcc_lo
.LBB41_2:
	s_or_b32 exec_lo, exec_lo, s1
	s_and_saveexec_b32 s1, s0
	s_cbranch_execz .LBB41_4
; %bb.3:
	v_lshlrev_b64 v[1:2], 3, v[3:4]
	v_add_co_u32 v1, vcc_lo, s2, v1
	v_add_co_ci_u32_e64 v2, null, s3, v2, vcc_lo
	global_load_dwordx2 v[1:2], v[1:2], off offset:8
	s_waitcnt vmcnt(0)
	v_sub_co_u32 v1, vcc_lo, v1, s13
	v_subrev_co_ci_u32_e64 v2, null, 0, v2, vcc_lo
.LBB41_4:
	s_or_b32 exec_lo, exec_lo, s1
	v_cmp_lt_i64_e64 s0, s[16:17], 1
	s_and_b32 vcc_lo, exec_lo, s0
	v_cmp_eq_u32_e64 s0, 0, v0
	s_cbranch_vccnz .LBB41_37
; %bb.5:
	v_mbcnt_lo_u32_b32 v4, -1, 0
	s_load_dwordx2 s[14:15], s[4:5], 0x38
	v_mov_b32_e32 v7, 0
	v_and_b32_e32 v17, 3, v0
	v_mov_b32_e32 v3, 0
	v_xor_b32_e32 v5, 2, v4
	v_xor_b32_e32 v6, 1, v4
	v_lshlrev_b32_e32 v18, 3, v0
	v_cmp_gt_u32_e64 s1, 0x80, v0
	v_cmp_gt_u32_e64 s2, 64, v0
	v_cmp_gt_i32_e32 vcc_lo, 32, v5
	v_lshl_or_b32 v19, v4, 2, 12
	v_cmp_gt_u32_e64 s3, 32, v0
	v_cmp_gt_u32_e64 s8, 16, v0
	;; [unrolled: 1-line block ×3, first 2 shown]
	v_cndmask_b32_e32 v5, v4, v5, vcc_lo
	v_cmp_gt_i32_e32 vcc_lo, 32, v6
	v_cmp_gt_u32_e64 s10, 4, v0
	v_cmp_gt_u32_e64 s11, 2, v0
	v_mov_b32_e32 v8, 0
	v_lshlrev_b32_e32 v20, 2, v5
	v_cndmask_b32_e32 v6, v4, v6, vcc_lo
	v_mov_b32_e32 v22, 1
	s_ashr_i32 s20, s19, 31
	s_sub_i32 s24, 0, s18
	v_lshlrev_b32_e32 v21, 2, v6
	s_branch .LBB41_7
.LBB41_6:                               ;   in Loop: Header=BB41_7 Depth=1
	s_or_b32 exec_lo, exec_lo, s12
	s_waitcnt lgkmcnt(0)
	s_barrier
	buffer_gl0_inv
	ds_read_b64 v[7:8], v3
	s_waitcnt lgkmcnt(0)
	s_barrier
	buffer_gl0_inv
	v_cmp_gt_i64_e32 vcc_lo, s[16:17], v[7:8]
	s_cbranch_vccz .LBB41_37
.LBB41_7:                               ; =>This Loop Header: Depth=1
                                        ;     Child Loop BB41_10 Depth 2
	v_add_co_u32 v9, vcc_lo, v9, v17
	v_mov_b32_e32 v5, s16
	v_mov_b32_e32 v16, v2
	v_add_co_ci_u32_e64 v10, null, 0, v10, vcc_lo
	v_mov_b32_e32 v6, s17
	v_mov_b32_e32 v15, v1
	s_mov_b32 s25, exec_lo
	ds_write_b8 v3, v3 offset:2056
	s_waitcnt lgkmcnt(0)
	s_barrier
	buffer_gl0_inv
	v_cmpx_lt_i64_e64 v[9:10], v[1:2]
	s_cbranch_execz .LBB41_19
; %bb.8:                                ;   in Loop: Header=BB41_7 Depth=1
	v_lshlrev_b64 v[11:12], 3, v[9:10]
	v_mov_b32_e32 v5, s16
	v_mov_b32_e32 v14, v2
	v_mov_b32_e32 v6, s17
	v_mov_b32_e32 v13, v1
	s_mov_b32 s26, 0
	v_add_co_u32 v11, vcc_lo, s14, v11
	v_add_co_ci_u32_e64 v12, null, s15, v12, vcc_lo
	s_branch .LBB41_10
.LBB41_9:                               ;   in Loop: Header=BB41_10 Depth=2
	s_or_b32 exec_lo, exec_lo, s12
	v_add_co_u32 v9, s12, v9, 4
	v_add_co_ci_u32_e64 v10, null, 0, v10, s12
	s_xor_b32 s21, vcc_lo, -1
	v_add_co_u32 v11, vcc_lo, v11, 32
	v_cmp_ge_i64_e64 s12, v[9:10], v[1:2]
	v_mov_b32_e32 v13, v15
	v_add_co_ci_u32_e64 v12, null, 0, v12, vcc_lo
	v_mov_b32_e32 v14, v16
	s_or_b32 s12, s21, s12
	s_and_b32 s12, exec_lo, s12
	s_or_b32 s26, s12, s26
	s_andn2_b32 exec_lo, exec_lo, s26
	s_cbranch_execz .LBB41_18
.LBB41_10:                              ;   Parent Loop BB41_7 Depth=1
                                        ; =>  This Inner Loop Header: Depth=2
	global_load_dwordx2 v[15:16], v[11:12], off
	s_mov_b32 s12, exec_lo
	s_waitcnt vmcnt(0)
	v_sub_co_u32 v23, vcc_lo, v15, s13
	v_subrev_co_ci_u32_e64 v24, null, 0, v16, vcc_lo
                                        ; implicit-def: $vgpr15_vgpr16
	v_or_b32_e32 v4, s19, v24
	v_cmpx_ne_u64_e32 0, v[3:4]
	s_xor_b32 s27, exec_lo, s12
	s_cbranch_execz .LBB41_12
; %bb.11:                               ;   in Loop: Header=BB41_10 Depth=2
	s_add_u32 s22, s18, s20
	s_mov_b32 s21, s20
	s_addc_u32 s23, s19, s20
	v_ashrrev_i32_e32 v27, 31, v24
	s_xor_b64 s[22:23], s[22:23], s[20:21]
	v_cvt_f32_u32_e32 v4, s22
	v_cvt_f32_u32_e32 v15, s23
	s_sub_u32 s12, 0, s22
	s_subb_u32 s29, 0, s23
	v_add_co_u32 v16, vcc_lo, v23, v27
	v_fmac_f32_e32 v4, 0x4f800000, v15
	v_xor_b32_e32 v28, v16, v27
	v_rcp_f32_e32 v4, v4
	v_mul_f32_e32 v4, 0x5f7ffffc, v4
	v_mul_f32_e32 v15, 0x2f800000, v4
	v_trunc_f32_e32 v15, v15
	v_fmac_f32_e32 v4, 0xcf800000, v15
	v_cvt_u32_f32_e32 v15, v15
	v_cvt_u32_f32_e32 v4, v4
	v_readfirstlane_b32 s21, v15
	v_readfirstlane_b32 s28, v4
	s_mul_i32 s30, s12, s21
	v_add_co_ci_u32_e64 v4, null, v24, v27, vcc_lo
	s_mul_hi_u32 s33, s12, s28
	s_mul_i32 s31, s29, s28
	s_add_i32 s30, s33, s30
	s_mul_i32 s34, s12, s28
	s_add_i32 s30, s30, s31
	s_mul_hi_u32 s33, s28, s34
	s_mul_i32 s36, s28, s30
	s_mul_hi_u32 s35, s21, s34
	s_mul_i32 s31, s21, s34
	s_mul_hi_u32 s34, s28, s30
	s_add_u32 s33, s33, s36
	s_addc_u32 s34, 0, s34
	s_mul_hi_u32 s37, s21, s30
	s_add_u32 s31, s33, s31
	s_mul_i32 s30, s21, s30
	s_addc_u32 s31, s34, s35
	s_addc_u32 s33, s37, 0
	s_add_u32 s30, s31, s30
	s_addc_u32 s31, 0, s33
	s_add_u32 s28, s28, s30
	s_cselect_b32 s30, -1, 0
	s_mul_hi_u32 s33, s12, s28
	s_cmp_lg_u32 s30, 0
	s_mul_i32 s30, s12, s28
	s_addc_u32 s21, s21, s31
	s_mul_i32 s29, s29, s28
	s_mul_i32 s12, s12, s21
	s_mul_hi_u32 s31, s28, s30
	s_add_i32 s12, s33, s12
	s_mul_hi_u32 s33, s21, s30
	s_add_i32 s12, s12, s29
	s_mul_i32 s29, s21, s30
	s_mul_i32 s35, s28, s12
	s_mul_hi_u32 s34, s28, s12
	s_add_u32 s31, s31, s35
	s_addc_u32 s34, 0, s34
	s_mul_hi_u32 s30, s21, s12
	s_add_u32 s29, s31, s29
	s_mul_i32 s12, s21, s12
	s_addc_u32 s29, s34, s33
	s_addc_u32 s30, s30, 0
	s_add_u32 s12, s29, s12
	s_addc_u32 s29, 0, s30
	s_add_u32 s12, s28, s12
	s_cselect_b32 s28, -1, 0
	v_xor_b32_e32 v4, v4, v27
	s_cmp_lg_u32 s28, 0
	v_mul_hi_u32 v29, v28, s12
	s_addc_u32 s21, s21, s29
	v_mad_u64_u32 v[15:16], null, v28, s21, 0
	v_mad_u64_u32 v[23:24], null, v4, s12, 0
	v_mad_u64_u32 v[25:26], null, v4, s21, 0
	v_add_co_u32 v15, vcc_lo, v29, v15
	v_add_co_ci_u32_e64 v16, null, 0, v16, vcc_lo
	v_add_co_u32 v15, vcc_lo, v15, v23
	v_add_co_ci_u32_e32 v15, vcc_lo, v16, v24, vcc_lo
	v_add_co_ci_u32_e32 v16, vcc_lo, 0, v26, vcc_lo
	v_add_co_u32 v23, vcc_lo, v15, v25
	v_add_co_ci_u32_e64 v24, null, 0, v16, vcc_lo
	v_mul_lo_u32 v25, s23, v23
	v_mad_u64_u32 v[15:16], null, s22, v23, 0
	v_mul_lo_u32 v26, s22, v24
	v_sub_co_u32 v15, vcc_lo, v28, v15
	v_add3_u32 v16, v16, v26, v25
	v_add_co_u32 v26, s12, v23, 2
	v_add_co_ci_u32_e64 v28, null, 0, v24, s12
	v_sub_nc_u32_e32 v25, v4, v16
	v_sub_co_u32 v29, s12, v15, s22
	v_sub_co_ci_u32_e64 v4, null, v4, v16, vcc_lo
	v_subrev_co_ci_u32_e64 v25, null, s23, v25, vcc_lo
	v_cmp_le_u32_e32 vcc_lo, s22, v29
	v_subrev_co_ci_u32_e64 v25, null, 0, v25, s12
	v_cndmask_b32_e64 v16, 0, -1, vcc_lo
	v_cmp_le_u32_e32 vcc_lo, s23, v25
	v_cndmask_b32_e64 v29, 0, -1, vcc_lo
	v_cmp_le_u32_e32 vcc_lo, s22, v15
	;; [unrolled: 2-line block ×3, first 2 shown]
	v_cndmask_b32_e64 v30, 0, -1, vcc_lo
	v_cmp_eq_u32_e32 vcc_lo, s23, v25
	v_cndmask_b32_e32 v16, v29, v16, vcc_lo
	v_add_co_u32 v25, vcc_lo, v23, 1
	v_add_co_ci_u32_e64 v29, null, 0, v24, vcc_lo
	v_cmp_eq_u32_e32 vcc_lo, s23, v4
	v_cndmask_b32_e32 v4, v30, v15, vcc_lo
	v_cmp_ne_u32_e32 vcc_lo, 0, v16
	v_xor_b32_e32 v16, s20, v27
	v_cmp_ne_u32_e64 s12, 0, v4
	v_cndmask_b32_e32 v4, v25, v26, vcc_lo
	v_cndmask_b32_e32 v15, v29, v28, vcc_lo
	v_cndmask_b32_e64 v4, v23, v4, s12
	v_cndmask_b32_e64 v15, v24, v15, s12
	v_xor_b32_e32 v4, v4, v16
	v_xor_b32_e32 v23, v15, v16
	v_sub_co_u32 v15, vcc_lo, v4, v16
	v_sub_co_ci_u32_e64 v16, null, v23, v16, vcc_lo
                                        ; implicit-def: $vgpr23
.LBB41_12:                              ;   in Loop: Header=BB41_10 Depth=2
	s_andn2_saveexec_b32 s12, s27
	s_cbranch_execz .LBB41_14
; %bb.13:                               ;   in Loop: Header=BB41_10 Depth=2
	v_cvt_f32_u32_e32 v4, s18
	v_rcp_iflag_f32_e32 v4, v4
	v_mul_f32_e32 v4, 0x4f7ffffe, v4
	v_cvt_u32_f32_e32 v4, v4
	v_mul_lo_u32 v15, s24, v4
	v_mul_hi_u32 v15, v4, v15
	v_add_nc_u32_e32 v4, v4, v15
	v_mul_hi_u32 v4, v23, v4
	v_mul_lo_u32 v15, v4, s18
	v_add_nc_u32_e32 v16, 1, v4
	v_sub_nc_u32_e32 v15, v23, v15
	v_subrev_nc_u32_e32 v23, s18, v15
	v_cmp_le_u32_e32 vcc_lo, s18, v15
	v_cndmask_b32_e32 v15, v15, v23, vcc_lo
	v_cndmask_b32_e32 v4, v4, v16, vcc_lo
	v_cmp_le_u32_e32 vcc_lo, s18, v15
	v_add_nc_u32_e32 v16, 1, v4
	v_cndmask_b32_e32 v15, v4, v16, vcc_lo
	v_mov_b32_e32 v16, v3
.LBB41_14:                              ;   in Loop: Header=BB41_10 Depth=2
	s_or_b32 exec_lo, exec_lo, s12
	s_mov_b32 s21, exec_lo
	v_cmp_eq_u64_e32 vcc_lo, v[15:16], v[7:8]
	v_cmpx_ne_u64_e64 v[15:16], v[7:8]
	s_xor_b32 s21, exec_lo, s21
; %bb.15:                               ;   in Loop: Header=BB41_10 Depth=2
	v_cmp_lt_i64_e64 s12, v[15:16], v[5:6]
                                        ; implicit-def: $vgpr13_vgpr14
	v_cndmask_b32_e64 v6, v6, v16, s12
	v_cndmask_b32_e64 v5, v5, v15, s12
; %bb.16:                               ;   in Loop: Header=BB41_10 Depth=2
	s_or_saveexec_b32 s12, s21
	v_mov_b32_e32 v16, v10
	v_mov_b32_e32 v15, v9
	s_xor_b32 exec_lo, exec_lo, s12
	s_cbranch_execz .LBB41_9
; %bb.17:                               ;   in Loop: Header=BB41_10 Depth=2
	v_mov_b32_e32 v16, v14
	v_mov_b32_e32 v15, v13
	ds_write_b8 v3, v22 offset:2056
	s_branch .LBB41_9
.LBB41_18:                              ;   in Loop: Header=BB41_7 Depth=1
	s_or_b32 exec_lo, exec_lo, s26
.LBB41_19:                              ;   in Loop: Header=BB41_7 Depth=1
	s_or_b32 exec_lo, exec_lo, s25
	ds_bpermute_b32 v7, v20, v15
	ds_bpermute_b32 v8, v20, v16
	s_waitcnt lgkmcnt(0)
	s_barrier
	buffer_gl0_inv
	ds_read_u8 v4, v3 offset:2056
	v_cmp_lt_i64_e32 vcc_lo, v[7:8], v[15:16]
	s_waitcnt lgkmcnt(0)
	v_readfirstlane_b32 s12, v4
	v_cndmask_b32_e32 v8, v16, v8, vcc_lo
	v_cndmask_b32_e32 v7, v15, v7, vcc_lo
	s_bitcmp1_b32 s12, 0
	ds_bpermute_b32 v10, v21, v8
	ds_bpermute_b32 v9, v21, v7
	s_cselect_b32 s12, -1, 0
	s_and_b32 s21, s0, s12
	s_waitcnt lgkmcnt(0)
	v_cmp_lt_i64_e32 vcc_lo, v[9:10], v[7:8]
	v_cndmask_b32_e32 v8, v8, v10, vcc_lo
	v_cndmask_b32_e32 v7, v7, v9, vcc_lo
	ds_bpermute_b32 v10, v19, v8
	ds_bpermute_b32 v9, v19, v7
	s_and_saveexec_b32 s12, s21
	s_cbranch_execz .LBB41_21
; %bb.20:                               ;   in Loop: Header=BB41_7 Depth=1
	ds_read_b64 v[7:8], v3 offset:2048
	s_waitcnt lgkmcnt(0)
	v_add_co_u32 v7, vcc_lo, v7, 1
	v_add_co_ci_u32_e64 v8, null, 0, v8, vcc_lo
	ds_write_b64 v3, v[7:8] offset:2048
.LBB41_21:                              ;   in Loop: Header=BB41_7 Depth=1
	s_or_b32 exec_lo, exec_lo, s12
	ds_write_b64 v18, v[5:6]
	s_waitcnt lgkmcnt(0)
	s_barrier
	buffer_gl0_inv
	s_and_saveexec_b32 s12, s1
	s_cbranch_execz .LBB41_23
; %bb.22:                               ;   in Loop: Header=BB41_7 Depth=1
	ds_read2st64_b64 v[4:7], v18 offset1:2
	s_waitcnt lgkmcnt(0)
	v_cmp_lt_i64_e32 vcc_lo, v[6:7], v[4:5]
	v_cndmask_b32_e32 v5, v5, v7, vcc_lo
	v_cndmask_b32_e32 v4, v4, v6, vcc_lo
	ds_write_b64 v18, v[4:5]
.LBB41_23:                              ;   in Loop: Header=BB41_7 Depth=1
	s_or_b32 exec_lo, exec_lo, s12
	s_waitcnt lgkmcnt(0)
	s_barrier
	buffer_gl0_inv
	s_and_saveexec_b32 s12, s2
	s_cbranch_execz .LBB41_25
; %bb.24:                               ;   in Loop: Header=BB41_7 Depth=1
	ds_read2st64_b64 v[4:7], v18 offset1:1
	s_waitcnt lgkmcnt(0)
	v_cmp_lt_i64_e32 vcc_lo, v[6:7], v[4:5]
	v_cndmask_b32_e32 v5, v5, v7, vcc_lo
	v_cndmask_b32_e32 v4, v4, v6, vcc_lo
	ds_write_b64 v18, v[4:5]
.LBB41_25:                              ;   in Loop: Header=BB41_7 Depth=1
	s_or_b32 exec_lo, exec_lo, s12
	s_waitcnt lgkmcnt(0)
	s_barrier
	buffer_gl0_inv
	s_and_saveexec_b32 s12, s3
	s_cbranch_execz .LBB41_27
; %bb.26:                               ;   in Loop: Header=BB41_7 Depth=1
	ds_read2_b64 v[4:7], v18 offset1:32
	s_waitcnt lgkmcnt(0)
	v_cmp_lt_i64_e32 vcc_lo, v[6:7], v[4:5]
	v_cndmask_b32_e32 v5, v5, v7, vcc_lo
	v_cndmask_b32_e32 v4, v4, v6, vcc_lo
	ds_write_b64 v18, v[4:5]
.LBB41_27:                              ;   in Loop: Header=BB41_7 Depth=1
	s_or_b32 exec_lo, exec_lo, s12
	s_waitcnt lgkmcnt(0)
	s_barrier
	buffer_gl0_inv
	s_and_saveexec_b32 s12, s8
	s_cbranch_execz .LBB41_29
; %bb.28:                               ;   in Loop: Header=BB41_7 Depth=1
	ds_read2_b64 v[4:7], v18 offset1:16
	s_waitcnt lgkmcnt(0)
	v_cmp_lt_i64_e32 vcc_lo, v[6:7], v[4:5]
	v_cndmask_b32_e32 v5, v5, v7, vcc_lo
	v_cndmask_b32_e32 v4, v4, v6, vcc_lo
	ds_write_b64 v18, v[4:5]
.LBB41_29:                              ;   in Loop: Header=BB41_7 Depth=1
	;; [unrolled: 14-line block ×5, first 2 shown]
	s_or_b32 exec_lo, exec_lo, s12
	s_waitcnt lgkmcnt(0)
	s_barrier
	buffer_gl0_inv
	s_and_saveexec_b32 s12, s0
	s_cbranch_execz .LBB41_6
; %bb.36:                               ;   in Loop: Header=BB41_7 Depth=1
	ds_read_b128 v[4:7], v3
	s_waitcnt lgkmcnt(0)
	v_cmp_lt_i64_e32 vcc_lo, v[6:7], v[4:5]
	v_cndmask_b32_e32 v5, v5, v7, vcc_lo
	v_cndmask_b32_e32 v4, v4, v6, vcc_lo
	ds_write_b64 v3, v[4:5]
	s_branch .LBB41_6
.LBB41_37:
	s_mov_b32 s0, exec_lo
	v_cmpx_eq_u32_e32 0, v0
	s_cbranch_execz .LBB41_39
; %bb.38:
	s_clause 0x1
	s_load_dword s2, s[4:5], 0x40
	s_load_dwordx2 s[0:1], s[4:5], 0x48
	v_mov_b32_e32 v1, 0
	ds_read_b64 v[2:3], v1 offset:2048
	s_waitcnt lgkmcnt(0)
	v_mov_b32_e32 v0, s2
	s_lshl_b64 s[2:3], s[6:7], 3
	s_add_u32 s2, s0, s2
	s_addc_u32 s3, s1, s3
	global_store_dwordx2 v1, v[0:1], s[0:1]
	global_store_dwordx2 v1, v[2:3], s[2:3] offset:8
.LBB41_39:
	s_endpgm
	.section	.rodata,"a",@progbits
	.p2align	6, 0x0
	.amdhsa_kernel _ZN9rocsparseL42csr2bsr_nnz_block_per_row_multipass_kernelILj256ELj64EllEEvT2_S1_S1_S1_S1_21rocsparse_index_base_PKT1_PKS1_S2_PS3_
		.amdhsa_group_segment_fixed_size 2064
		.amdhsa_private_segment_fixed_size 0
		.amdhsa_kernarg_size 80
		.amdhsa_user_sgpr_count 6
		.amdhsa_user_sgpr_private_segment_buffer 1
		.amdhsa_user_sgpr_dispatch_ptr 0
		.amdhsa_user_sgpr_queue_ptr 0
		.amdhsa_user_sgpr_kernarg_segment_ptr 1
		.amdhsa_user_sgpr_dispatch_id 0
		.amdhsa_user_sgpr_flat_scratch_init 0
		.amdhsa_user_sgpr_private_segment_size 0
		.amdhsa_wavefront_size32 1
		.amdhsa_uses_dynamic_stack 0
		.amdhsa_system_sgpr_private_segment_wavefront_offset 0
		.amdhsa_system_sgpr_workgroup_id_x 1
		.amdhsa_system_sgpr_workgroup_id_y 0
		.amdhsa_system_sgpr_workgroup_id_z 0
		.amdhsa_system_sgpr_workgroup_info 0
		.amdhsa_system_vgpr_workitem_id 0
		.amdhsa_next_free_vgpr 31
		.amdhsa_next_free_sgpr 38
		.amdhsa_reserve_vcc 1
		.amdhsa_reserve_flat_scratch 0
		.amdhsa_float_round_mode_32 0
		.amdhsa_float_round_mode_16_64 0
		.amdhsa_float_denorm_mode_32 3
		.amdhsa_float_denorm_mode_16_64 3
		.amdhsa_dx10_clamp 1
		.amdhsa_ieee_mode 1
		.amdhsa_fp16_overflow 0
		.amdhsa_workgroup_processor_mode 1
		.amdhsa_memory_ordered 1
		.amdhsa_forward_progress 1
		.amdhsa_shared_vgpr_count 0
		.amdhsa_exception_fp_ieee_invalid_op 0
		.amdhsa_exception_fp_denorm_src 0
		.amdhsa_exception_fp_ieee_div_zero 0
		.amdhsa_exception_fp_ieee_overflow 0
		.amdhsa_exception_fp_ieee_underflow 0
		.amdhsa_exception_fp_ieee_inexact 0
		.amdhsa_exception_int_div_zero 0
	.end_amdhsa_kernel
	.section	.text._ZN9rocsparseL42csr2bsr_nnz_block_per_row_multipass_kernelILj256ELj64EllEEvT2_S1_S1_S1_S1_21rocsparse_index_base_PKT1_PKS1_S2_PS3_,"axG",@progbits,_ZN9rocsparseL42csr2bsr_nnz_block_per_row_multipass_kernelILj256ELj64EllEEvT2_S1_S1_S1_S1_21rocsparse_index_base_PKT1_PKS1_S2_PS3_,comdat
.Lfunc_end41:
	.size	_ZN9rocsparseL42csr2bsr_nnz_block_per_row_multipass_kernelILj256ELj64EllEEvT2_S1_S1_S1_S1_21rocsparse_index_base_PKT1_PKS1_S2_PS3_, .Lfunc_end41-_ZN9rocsparseL42csr2bsr_nnz_block_per_row_multipass_kernelILj256ELj64EllEEvT2_S1_S1_S1_S1_21rocsparse_index_base_PKT1_PKS1_S2_PS3_
                                        ; -- End function
	.set _ZN9rocsparseL42csr2bsr_nnz_block_per_row_multipass_kernelILj256ELj64EllEEvT2_S1_S1_S1_S1_21rocsparse_index_base_PKT1_PKS1_S2_PS3_.num_vgpr, 31
	.set _ZN9rocsparseL42csr2bsr_nnz_block_per_row_multipass_kernelILj256ELj64EllEEvT2_S1_S1_S1_S1_21rocsparse_index_base_PKT1_PKS1_S2_PS3_.num_agpr, 0
	.set _ZN9rocsparseL42csr2bsr_nnz_block_per_row_multipass_kernelILj256ELj64EllEEvT2_S1_S1_S1_S1_21rocsparse_index_base_PKT1_PKS1_S2_PS3_.numbered_sgpr, 38
	.set _ZN9rocsparseL42csr2bsr_nnz_block_per_row_multipass_kernelILj256ELj64EllEEvT2_S1_S1_S1_S1_21rocsparse_index_base_PKT1_PKS1_S2_PS3_.num_named_barrier, 0
	.set _ZN9rocsparseL42csr2bsr_nnz_block_per_row_multipass_kernelILj256ELj64EllEEvT2_S1_S1_S1_S1_21rocsparse_index_base_PKT1_PKS1_S2_PS3_.private_seg_size, 0
	.set _ZN9rocsparseL42csr2bsr_nnz_block_per_row_multipass_kernelILj256ELj64EllEEvT2_S1_S1_S1_S1_21rocsparse_index_base_PKT1_PKS1_S2_PS3_.uses_vcc, 1
	.set _ZN9rocsparseL42csr2bsr_nnz_block_per_row_multipass_kernelILj256ELj64EllEEvT2_S1_S1_S1_S1_21rocsparse_index_base_PKT1_PKS1_S2_PS3_.uses_flat_scratch, 0
	.set _ZN9rocsparseL42csr2bsr_nnz_block_per_row_multipass_kernelILj256ELj64EllEEvT2_S1_S1_S1_S1_21rocsparse_index_base_PKT1_PKS1_S2_PS3_.has_dyn_sized_stack, 0
	.set _ZN9rocsparseL42csr2bsr_nnz_block_per_row_multipass_kernelILj256ELj64EllEEvT2_S1_S1_S1_S1_21rocsparse_index_base_PKT1_PKS1_S2_PS3_.has_recursion, 0
	.set _ZN9rocsparseL42csr2bsr_nnz_block_per_row_multipass_kernelILj256ELj64EllEEvT2_S1_S1_S1_S1_21rocsparse_index_base_PKT1_PKS1_S2_PS3_.has_indirect_call, 0
	.section	.AMDGPU.csdata,"",@progbits
; Kernel info:
; codeLenInByte = 2304
; TotalNumSgprs: 40
; NumVgprs: 31
; ScratchSize: 0
; MemoryBound: 0
; FloatMode: 240
; IeeeMode: 1
; LDSByteSize: 2064 bytes/workgroup (compile time only)
; SGPRBlocks: 0
; VGPRBlocks: 3
; NumSGPRsForWavesPerEU: 40
; NumVGPRsForWavesPerEU: 31
; Occupancy: 16
; WaveLimiterHint : 0
; COMPUTE_PGM_RSRC2:SCRATCH_EN: 0
; COMPUTE_PGM_RSRC2:USER_SGPR: 6
; COMPUTE_PGM_RSRC2:TRAP_HANDLER: 0
; COMPUTE_PGM_RSRC2:TGID_X_EN: 1
; COMPUTE_PGM_RSRC2:TGID_Y_EN: 0
; COMPUTE_PGM_RSRC2:TGID_Z_EN: 0
; COMPUTE_PGM_RSRC2:TIDIG_COMP_CNT: 0
	.section	.text._ZN9rocsparseL25csr2bsr_nnz_65_inf_kernelILj32EllEEvT1_S1_S1_S1_S1_S1_21rocsparse_index_base_PKT0_PKS1_S2_PS3_S8_,"axG",@progbits,_ZN9rocsparseL25csr2bsr_nnz_65_inf_kernelILj32EllEEvT1_S1_S1_S1_S1_S1_21rocsparse_index_base_PKT0_PKS1_S2_PS3_S8_,comdat
	.globl	_ZN9rocsparseL25csr2bsr_nnz_65_inf_kernelILj32EllEEvT1_S1_S1_S1_S1_S1_21rocsparse_index_base_PKT0_PKS1_S2_PS3_S8_ ; -- Begin function _ZN9rocsparseL25csr2bsr_nnz_65_inf_kernelILj32EllEEvT1_S1_S1_S1_S1_S1_21rocsparse_index_base_PKT0_PKS1_S2_PS3_S8_
	.p2align	8
	.type	_ZN9rocsparseL25csr2bsr_nnz_65_inf_kernelILj32EllEEvT1_S1_S1_S1_S1_S1_21rocsparse_index_base_PKT0_PKS1_S2_PS3_S8_,@function
_ZN9rocsparseL25csr2bsr_nnz_65_inf_kernelILj32EllEEvT1_S1_S1_S1_S1_S1_21rocsparse_index_base_PKT0_PKS1_S2_PS3_S8_: ; @_ZN9rocsparseL25csr2bsr_nnz_65_inf_kernelILj32EllEEvT1_S1_S1_S1_S1_S1_21rocsparse_index_base_PKT0_PKS1_S2_PS3_S8_
; %bb.0:
	s_clause 0x2
	s_load_dwordx8 s[8:15], s[4:5], 0x10
	s_load_dwordx2 s[0:1], s[4:5], 0x58
	s_load_dword s24, s[4:5], 0x30
	s_waitcnt lgkmcnt(0)
	v_mad_u64_u32 v[2:3], null, s14, v0, 0
	s_mul_i32 s3, s6, s15
	s_mul_hi_u32 s7, s6, s14
	s_mul_i32 s2, s6, s14
	s_add_i32 s3, s7, s3
	v_cmp_lt_i64_e64 s7, s[14:15], 1
	s_lshl_b64 s[2:3], s[2:3], 9
	v_mov_b32_e32 v1, v3
	s_add_u32 s2, s0, s2
	s_addc_u32 s3, s1, s3
	s_lshl_b64 s[0:1], s[14:15], 8
	v_cmp_gt_i64_e64 s25, s[14:15], 0
	v_mad_u64_u32 v[3:4], null, s15, v0, v[1:2]
	s_add_u32 s0, s2, s0
	s_addc_u32 s1, s3, s1
	v_mov_b32_e32 v1, 0
	v_lshlrev_b64 v[4:5], 3, v[2:3]
	v_add_co_u32 v2, vcc_lo, s2, v4
	v_add_co_ci_u32_e64 v3, null, s3, v5, vcc_lo
	v_add_co_u32 v4, vcc_lo, s0, v4
	v_add_co_ci_u32_e64 v5, null, s1, v5, vcc_lo
	s_and_b32 vcc_lo, exec_lo, s7
	s_mov_b32 s7, 0
	s_cbranch_vccnz .LBB42_5
; %bb.1:
	s_load_dwordx2 s[16:17], s[4:5], 0x38
	s_mul_i32 s0, s13, s6
	s_mul_hi_u32 s2, s12, s6
	s_mul_i32 s1, s12, s6
	s_add_i32 s18, s2, s0
	v_add_co_u32 v6, s0, s1, v0
	v_add_co_ci_u32_e64 v7, null, s18, 0, s0
	s_load_dwordx2 s[2:3], s[4:5], 0x0
	v_mov_b32_e32 v9, v1
	v_mov_b32_e32 v8, v0
	v_lshlrev_b64 v[10:11], 3, v[6:7]
	s_mov_b32 s20, s7
	s_mov_b32 s21, s7
	v_mov_b32_e32 v7, v5
	v_mov_b32_e32 v15, v3
	;; [unrolled: 1-line block ×4, first 2 shown]
	s_waitcnt lgkmcnt(0)
	v_add_co_u32 v1, vcc_lo, s16, v10
	v_add_co_ci_u32_e64 v13, null, s17, v11, vcc_lo
	v_mov_b32_e32 v10, s20
	v_add_co_u32 v12, vcc_lo, v1, 8
	v_mov_b32_e32 v11, s21
	v_add_co_ci_u32_e64 v13, null, 0, v13, vcc_lo
	s_mov_b64 s[16:17], s[14:15]
	s_branch .LBB42_3
.LBB42_2:                               ;   in Loop: Header=BB42_3 Depth=1
	s_or_b32 exec_lo, exec_lo, s0
	v_add_co_u32 v14, vcc_lo, v14, 8
	v_add_co_ci_u32_e64 v15, null, 0, v15, vcc_lo
	v_add_co_u32 v12, vcc_lo, 0x100, v12
	v_add_co_ci_u32_e64 v13, null, 0, v13, vcc_lo
	;; [unrolled: 2-line block ×3, first 2 shown]
	v_add_co_u32 v6, vcc_lo, v6, 8
	s_add_u32 s16, s16, -1
	v_add_co_ci_u32_e64 v7, null, 0, v7, vcc_lo
	s_addc_u32 s17, s17, -1
	s_cmp_eq_u64 s[16:17], 0
	s_cbranch_scc1 .LBB42_5
.LBB42_3:                               ; =>This Inner Loop Header: Depth=1
	v_add_co_u32 v16, vcc_lo, s1, v8
	v_add_co_ci_u32_e64 v17, null, s18, v9, vcc_lo
	v_cmp_gt_i64_e64 s0, s[12:13], v[8:9]
	global_store_dwordx2 v[14:15], v[10:11], off
	global_store_dwordx2 v[6:7], v[10:11], off
	v_cmp_gt_i64_e32 vcc_lo, s[2:3], v[16:17]
	s_and_b32 s19, vcc_lo, s0
	s_and_saveexec_b32 s0, s19
	s_cbranch_execz .LBB42_2
; %bb.4:                                ;   in Loop: Header=BB42_3 Depth=1
	global_load_dwordx4 v[16:19], v[12:13], off offset:-8
	s_waitcnt vmcnt(0)
	v_sub_co_u32 v16, vcc_lo, v16, s24
	v_subrev_co_ci_u32_e64 v17, null, 0, v17, vcc_lo
	v_sub_co_u32 v18, vcc_lo, v18, s24
	v_subrev_co_ci_u32_e64 v19, null, 0, v19, vcc_lo
	global_store_dwordx2 v[14:15], v[16:17], off
	global_store_dwordx2 v[6:7], v[18:19], off
	s_branch .LBB42_2
.LBB42_5:
	s_load_dwordx2 s[2:3], s[4:5], 0x50
	v_cmp_lt_i64_e64 s0, s[10:11], 1
	s_and_b32 vcc_lo, exec_lo, s0
	v_cmp_eq_u32_e64 s0, 31, v0
	s_cbranch_vccnz .LBB42_24
; %bb.6:
	v_mbcnt_lo_u32_b32 v1, -1, 0
	s_load_dwordx2 s[16:17], s[4:5], 0x40
	v_mov_b32_e32 v30, 0x7c
	s_mov_b32 s26, 0
	s_ashr_i32 s18, s13, 31
	v_xor_b32_e32 v6, 16, v1
	v_xor_b32_e32 v7, 8, v1
	;; [unrolled: 1-line block ×5, first 2 shown]
	v_cmp_gt_i32_e32 vcc_lo, 32, v6
	s_sub_i32 s27, 0, s12
	v_cndmask_b32_e32 v6, v1, v6, vcc_lo
	v_cmp_gt_i32_e32 vcc_lo, 32, v7
	v_cndmask_b32_e32 v7, v1, v7, vcc_lo
	v_cmp_gt_i32_e32 vcc_lo, 32, v8
	v_lshlrev_b32_e32 v26, 2, v7
	v_cndmask_b32_e32 v8, v1, v8, vcc_lo
	v_cmp_gt_i32_e32 vcc_lo, 32, v9
	v_lshlrev_b32_e32 v27, 2, v8
	v_cndmask_b32_e32 v9, v1, v9, vcc_lo
	v_cmp_gt_i32_e32 vcc_lo, 32, v10
	v_mov_b32_e32 v8, 0
	v_lshlrev_b32_e32 v28, 2, v9
	v_cndmask_b32_e32 v10, v1, v10, vcc_lo
	v_lshlrev_b32_e32 v1, 2, v6
	v_mov_b32_e32 v6, 0
	v_mov_b32_e32 v7, 0
	v_lshlrev_b32_e32 v29, 2, v10
	v_mov_b32_e32 v10, 0
	v_mov_b32_e32 v11, 0
	s_branch .LBB42_8
.LBB42_7:                               ;   in Loop: Header=BB42_8 Depth=1
	ds_bpermute_b32 v9, v1, v12
	ds_bpermute_b32 v10, v1, v13
	s_waitcnt lgkmcnt(0)
	v_cmp_lt_i64_e32 vcc_lo, v[9:10], v[12:13]
	v_cndmask_b32_e32 v10, v13, v10, vcc_lo
	v_cndmask_b32_e32 v9, v12, v9, vcc_lo
	ds_bpermute_b32 v12, v26, v10
	ds_bpermute_b32 v11, v26, v9
	s_waitcnt lgkmcnt(0)
	v_cmp_lt_i64_e32 vcc_lo, v[11:12], v[9:10]
	v_cndmask_b32_e32 v10, v10, v12, vcc_lo
	v_cndmask_b32_e32 v9, v9, v11, vcc_lo
	;; [unrolled: 6-line block ×5, first 2 shown]
	ds_bpermute_b32 v11, v30, v10
	ds_bpermute_b32 v10, v30, v9
	s_waitcnt lgkmcnt(0)
	v_cmp_gt_i64_e32 vcc_lo, s[10:11], v[10:11]
	v_add_co_u32 v10, s1, v10, 1
	v_add_co_ci_u32_e64 v11, null, 0, v11, s1
	s_and_b32 s1, s0, vcc_lo
	v_cndmask_b32_e64 v9, 0, 1, s1
	v_cmp_le_i64_e32 vcc_lo, s[10:11], v[10:11]
	v_add_co_u32 v6, s1, v6, v9
	v_add_co_ci_u32_e64 v7, null, 0, v7, s1
	s_or_b32 s26, vcc_lo, s26
	s_andn2_b32 exec_lo, exec_lo, s26
	s_cbranch_execz .LBB42_23
.LBB42_8:                               ; =>This Loop Header: Depth=1
                                        ;     Child Loop BB42_12 Depth 2
                                        ;       Child Loop BB42_15 Depth 3
	v_mov_b32_e32 v13, s11
	v_mov_b32_e32 v12, s10
	s_andn2_b32 vcc_lo, exec_lo, s25
	s_cbranch_vccnz .LBB42_7
; %bb.9:                                ;   in Loop: Header=BB42_8 Depth=1
	v_mov_b32_e32 v13, s11
	v_mov_b32_e32 v12, s10
	s_mov_b64 s[20:21], 0
	s_branch .LBB42_12
.LBB42_10:                              ;   in Loop: Header=BB42_12 Depth=2
	s_or_b32 exec_lo, exec_lo, s1
.LBB42_11:                              ;   in Loop: Header=BB42_12 Depth=2
	s_or_b32 exec_lo, exec_lo, s28
	s_add_u32 s20, s20, 1
	s_addc_u32 s21, s21, 0
	s_cmp_eq_u64 s[20:21], s[14:15]
	s_cbranch_scc1 .LBB42_7
.LBB42_12:                              ;   Parent Loop BB42_8 Depth=1
                                        ; =>  This Loop Header: Depth=2
                                        ;       Child Loop BB42_15 Depth 3
	s_lshl_b64 s[22:23], s[20:21], 3
	s_mov_b32 s28, exec_lo
	v_add_co_u32 v14, vcc_lo, v2, s22
	v_add_co_ci_u32_e64 v15, null, s23, v3, vcc_lo
	v_add_co_u32 v16, vcc_lo, v4, s22
	v_add_co_ci_u32_e64 v17, null, s23, v5, vcc_lo
	s_clause 0x1
	global_load_dwordx2 v[24:25], v[14:15], off
	global_load_dwordx2 v[16:17], v[16:17], off
	s_waitcnt vmcnt(0)
	v_cmpx_lt_i64_e64 v[24:25], v[16:17]
	s_cbranch_execz .LBB42_11
; %bb.13:                               ;   in Loop: Header=BB42_12 Depth=2
	v_lshlrev_b64 v[18:19], 3, v[24:25]
	s_mov_b32 s29, 0
                                        ; implicit-def: $sgpr30
                                        ; implicit-def: $sgpr31
	s_waitcnt lgkmcnt(0)
	v_add_co_u32 v18, vcc_lo, s16, v18
	v_add_co_ci_u32_e64 v19, null, s17, v19, vcc_lo
	s_branch .LBB42_15
.LBB42_14:                              ;   in Loop: Header=BB42_15 Depth=3
	s_or_b32 exec_lo, exec_lo, s19
	s_and_b32 s1, exec_lo, s1
	s_or_b32 s29, s1, s29
	s_andn2_b32 s1, s30, exec_lo
	s_and_b32 s19, s31, exec_lo
	s_or_b32 s30, s1, s19
	s_andn2_b32 exec_lo, exec_lo, s29
	s_cbranch_execz .LBB42_21
.LBB42_15:                              ;   Parent Loop BB42_8 Depth=1
                                        ;     Parent Loop BB42_12 Depth=2
                                        ; =>    This Inner Loop Header: Depth=3
	global_load_dwordx2 v[20:21], v[18:19], off
                                        ; implicit-def: $vgpr22_vgpr23
	s_mov_b32 s1, exec_lo
	s_waitcnt vmcnt(0)
	v_sub_co_u32 v31, vcc_lo, v20, s24
	v_subrev_co_ci_u32_e64 v32, null, 0, v21, vcc_lo
	v_mov_b32_e32 v20, v24
	v_mov_b32_e32 v21, v25
	v_or_b32_e32 v9, s13, v32
	v_cmpx_ne_u64_e32 0, v[8:9]
	s_xor_b32 s33, exec_lo, s1
	s_cbranch_execz .LBB42_17
; %bb.16:                               ;   in Loop: Header=BB42_15 Depth=3
	s_add_u32 s22, s12, s18
	s_mov_b32 s19, s18
	s_addc_u32 s23, s13, s18
	v_ashrrev_i32_e32 v33, 31, v32
	s_xor_b64 s[22:23], s[22:23], s[18:19]
	v_cvt_f32_u32_e32 v9, s22
	v_cvt_f32_u32_e32 v22, s23
	s_sub_u32 s1, 0, s22
	s_subb_u32 s35, 0, s23
	v_add_co_u32 v23, vcc_lo, v31, v33
	v_fmac_f32_e32 v9, 0x4f800000, v22
	v_xor_b32_e32 v34, v23, v33
	v_rcp_f32_e32 v9, v9
	v_mul_f32_e32 v9, 0x5f7ffffc, v9
	v_mul_f32_e32 v22, 0x2f800000, v9
	v_trunc_f32_e32 v22, v22
	v_fmac_f32_e32 v9, 0xcf800000, v22
	v_cvt_u32_f32_e32 v22, v22
	v_cvt_u32_f32_e32 v9, v9
	v_readfirstlane_b32 s19, v22
	v_readfirstlane_b32 s34, v9
	s_mul_i32 s36, s1, s19
	v_add_co_ci_u32_e64 v9, null, v32, v33, vcc_lo
	s_mul_hi_u32 s38, s1, s34
	s_mul_i32 s37, s35, s34
	s_add_i32 s36, s38, s36
	s_mul_i32 s39, s1, s34
	s_add_i32 s36, s36, s37
	s_mul_hi_u32 s38, s34, s39
	s_mul_i32 s41, s34, s36
	s_mul_hi_u32 s40, s19, s39
	s_mul_i32 s37, s19, s39
	s_mul_hi_u32 s39, s34, s36
	s_add_u32 s38, s38, s41
	s_addc_u32 s39, 0, s39
	s_mul_hi_u32 s42, s19, s36
	s_add_u32 s37, s38, s37
	s_mul_i32 s36, s19, s36
	s_addc_u32 s37, s39, s40
	s_addc_u32 s38, s42, 0
	s_add_u32 s36, s37, s36
	s_addc_u32 s37, 0, s38
	s_add_u32 s34, s34, s36
	s_cselect_b32 s36, -1, 0
	s_mul_hi_u32 s38, s1, s34
	s_cmp_lg_u32 s36, 0
	s_mul_i32 s36, s1, s34
	s_addc_u32 s19, s19, s37
	s_mul_i32 s35, s35, s34
	s_mul_i32 s1, s1, s19
	s_mul_hi_u32 s37, s34, s36
	s_add_i32 s1, s38, s1
	s_mul_hi_u32 s38, s19, s36
	s_add_i32 s1, s1, s35
	s_mul_i32 s35, s19, s36
	s_mul_i32 s40, s34, s1
	s_mul_hi_u32 s39, s34, s1
	s_add_u32 s37, s37, s40
	s_addc_u32 s39, 0, s39
	s_mul_hi_u32 s36, s19, s1
	s_add_u32 s35, s37, s35
	s_mul_i32 s1, s19, s1
	s_addc_u32 s35, s39, s38
	s_addc_u32 s36, s36, 0
	s_add_u32 s1, s35, s1
	s_addc_u32 s35, 0, s36
	s_add_u32 s1, s34, s1
	s_cselect_b32 s34, -1, 0
	v_xor_b32_e32 v9, v9, v33
	s_cmp_lg_u32 s34, 0
	v_mul_hi_u32 v35, v34, s1
	s_addc_u32 s19, s19, s35
	v_mad_u64_u32 v[22:23], null, v34, s19, 0
	v_mad_u64_u32 v[24:25], null, v9, s1, 0
	;; [unrolled: 1-line block ×3, first 2 shown]
	v_add_co_u32 v22, vcc_lo, v35, v22
	v_add_co_ci_u32_e64 v23, null, 0, v23, vcc_lo
	v_add_co_u32 v22, vcc_lo, v22, v24
	v_add_co_ci_u32_e32 v22, vcc_lo, v23, v25, vcc_lo
	v_add_co_ci_u32_e32 v23, vcc_lo, 0, v32, vcc_lo
	v_add_co_u32 v24, vcc_lo, v22, v31
	v_add_co_ci_u32_e64 v25, null, 0, v23, vcc_lo
	v_mul_lo_u32 v31, s23, v24
	v_mad_u64_u32 v[22:23], null, s22, v24, 0
	v_mul_lo_u32 v32, s22, v25
	v_sub_co_u32 v22, vcc_lo, v34, v22
	v_add3_u32 v23, v23, v32, v31
	v_add_co_u32 v32, s1, v24, 2
	v_add_co_ci_u32_e64 v34, null, 0, v25, s1
	v_sub_nc_u32_e32 v31, v9, v23
	v_sub_co_u32 v35, s1, v22, s22
	v_sub_co_ci_u32_e64 v9, null, v9, v23, vcc_lo
	v_subrev_co_ci_u32_e64 v31, null, s23, v31, vcc_lo
	v_cmp_le_u32_e32 vcc_lo, s22, v35
	v_subrev_co_ci_u32_e64 v31, null, 0, v31, s1
	v_cndmask_b32_e64 v23, 0, -1, vcc_lo
	v_cmp_le_u32_e32 vcc_lo, s23, v31
	v_cndmask_b32_e64 v35, 0, -1, vcc_lo
	v_cmp_le_u32_e32 vcc_lo, s22, v22
	;; [unrolled: 2-line block ×3, first 2 shown]
	v_cndmask_b32_e64 v36, 0, -1, vcc_lo
	v_cmp_eq_u32_e32 vcc_lo, s23, v31
	v_cndmask_b32_e32 v23, v35, v23, vcc_lo
	v_add_co_u32 v31, vcc_lo, v24, 1
	v_add_co_ci_u32_e64 v35, null, 0, v25, vcc_lo
	v_cmp_eq_u32_e32 vcc_lo, s23, v9
	v_cndmask_b32_e32 v9, v36, v22, vcc_lo
	v_cmp_ne_u32_e32 vcc_lo, 0, v23
	v_xor_b32_e32 v23, s18, v33
	v_cmp_ne_u32_e64 s1, 0, v9
	v_cndmask_b32_e32 v9, v31, v32, vcc_lo
	v_cndmask_b32_e32 v22, v35, v34, vcc_lo
                                        ; implicit-def: $vgpr31
	v_cndmask_b32_e64 v9, v24, v9, s1
	v_cndmask_b32_e64 v22, v25, v22, s1
	v_xor_b32_e32 v9, v9, v23
	v_xor_b32_e32 v24, v22, v23
	v_sub_co_u32 v22, vcc_lo, v9, v23
	v_sub_co_ci_u32_e64 v23, null, v24, v23, vcc_lo
.LBB42_17:                              ;   in Loop: Header=BB42_15 Depth=3
	s_andn2_saveexec_b32 s1, s33
	s_cbranch_execz .LBB42_19
; %bb.18:                               ;   in Loop: Header=BB42_15 Depth=3
	v_cvt_f32_u32_e32 v9, s12
	v_rcp_iflag_f32_e32 v9, v9
	v_mul_f32_e32 v9, 0x4f7ffffe, v9
	v_cvt_u32_f32_e32 v9, v9
	v_mul_lo_u32 v22, s27, v9
	v_mul_hi_u32 v22, v9, v22
	v_add_nc_u32_e32 v9, v9, v22
	v_mul_hi_u32 v9, v31, v9
	v_mul_lo_u32 v22, v9, s12
	v_add_nc_u32_e32 v23, 1, v9
	v_sub_nc_u32_e32 v22, v31, v22
	v_subrev_nc_u32_e32 v24, s12, v22
	v_cmp_le_u32_e32 vcc_lo, s12, v22
	v_cndmask_b32_e32 v22, v22, v24, vcc_lo
	v_cndmask_b32_e32 v9, v9, v23, vcc_lo
	v_cmp_le_u32_e32 vcc_lo, s12, v22
	v_add_nc_u32_e32 v23, 1, v9
	v_cndmask_b32_e32 v22, v9, v23, vcc_lo
	v_mov_b32_e32 v23, v8
.LBB42_19:                              ;   in Loop: Header=BB42_15 Depth=3
	s_or_b32 exec_lo, exec_lo, s1
	s_mov_b32 s1, -1
	s_or_b32 s31, s31, exec_lo
	s_mov_b32 s19, exec_lo
                                        ; implicit-def: $vgpr24_vgpr25
	v_cmpx_lt_i64_e64 v[22:23], v[10:11]
	s_cbranch_execz .LBB42_14
; %bb.20:                               ;   in Loop: Header=BB42_15 Depth=3
	v_add_co_u32 v24, vcc_lo, v20, 1
	v_add_co_ci_u32_e64 v25, null, 0, v21, vcc_lo
	v_add_co_u32 v18, s1, v18, 8
	v_add_co_ci_u32_e64 v19, null, 0, v19, s1
	v_cmp_ge_i64_e32 vcc_lo, v[24:25], v[16:17]
	s_andn2_b32 s31, s31, exec_lo
	s_orn2_b32 s1, vcc_lo, exec_lo
	s_branch .LBB42_14
.LBB42_21:                              ;   in Loop: Header=BB42_12 Depth=2
	s_or_b32 exec_lo, exec_lo, s29
	s_and_saveexec_b32 s1, s30
	s_xor_b32 s1, exec_lo, s1
	s_cbranch_execz .LBB42_10
; %bb.22:                               ;   in Loop: Header=BB42_12 Depth=2
	v_cmp_lt_i64_e32 vcc_lo, v[22:23], v[12:13]
	global_store_dwordx2 v[14:15], v[20:21], off
	v_cndmask_b32_e32 v13, v13, v23, vcc_lo
	v_cndmask_b32_e32 v12, v12, v22, vcc_lo
	s_branch .LBB42_10
.LBB42_23:
	s_or_b32 exec_lo, exec_lo, s26
	s_branch .LBB42_25
.LBB42_24:
	v_mov_b32_e32 v6, 0
	v_mov_b32_e32 v7, 0
.LBB42_25:
	v_cmp_gt_i64_e64 s0, s[8:9], s[6:7]
	v_cmp_eq_u32_e32 vcc_lo, 31, v0
	s_and_b32 s0, vcc_lo, s0
	s_and_saveexec_b32 s1, s0
	s_cbranch_execz .LBB42_27
; %bb.26:
	s_load_dword s0, s[4:5], 0x48
	v_mov_b32_e32 v1, 0
	s_waitcnt lgkmcnt(0)
	v_mov_b32_e32 v0, s0
	s_lshl_b64 s[0:1], s[6:7], 3
	s_add_u32 s0, s2, s0
	s_addc_u32 s1, s3, s1
	global_store_dwordx2 v1, v[0:1], s[2:3]
	global_store_dwordx2 v1, v[6:7], s[0:1] offset:8
.LBB42_27:
	s_endpgm
	.section	.rodata,"a",@progbits
	.p2align	6, 0x0
	.amdhsa_kernel _ZN9rocsparseL25csr2bsr_nnz_65_inf_kernelILj32EllEEvT1_S1_S1_S1_S1_S1_21rocsparse_index_base_PKT0_PKS1_S2_PS3_S8_
		.amdhsa_group_segment_fixed_size 0
		.amdhsa_private_segment_fixed_size 0
		.amdhsa_kernarg_size 96
		.amdhsa_user_sgpr_count 6
		.amdhsa_user_sgpr_private_segment_buffer 1
		.amdhsa_user_sgpr_dispatch_ptr 0
		.amdhsa_user_sgpr_queue_ptr 0
		.amdhsa_user_sgpr_kernarg_segment_ptr 1
		.amdhsa_user_sgpr_dispatch_id 0
		.amdhsa_user_sgpr_flat_scratch_init 0
		.amdhsa_user_sgpr_private_segment_size 0
		.amdhsa_wavefront_size32 1
		.amdhsa_uses_dynamic_stack 0
		.amdhsa_system_sgpr_private_segment_wavefront_offset 0
		.amdhsa_system_sgpr_workgroup_id_x 1
		.amdhsa_system_sgpr_workgroup_id_y 0
		.amdhsa_system_sgpr_workgroup_id_z 0
		.amdhsa_system_sgpr_workgroup_info 0
		.amdhsa_system_vgpr_workitem_id 0
		.amdhsa_next_free_vgpr 37
		.amdhsa_next_free_sgpr 43
		.amdhsa_reserve_vcc 1
		.amdhsa_reserve_flat_scratch 0
		.amdhsa_float_round_mode_32 0
		.amdhsa_float_round_mode_16_64 0
		.amdhsa_float_denorm_mode_32 3
		.amdhsa_float_denorm_mode_16_64 3
		.amdhsa_dx10_clamp 1
		.amdhsa_ieee_mode 1
		.amdhsa_fp16_overflow 0
		.amdhsa_workgroup_processor_mode 1
		.amdhsa_memory_ordered 1
		.amdhsa_forward_progress 1
		.amdhsa_shared_vgpr_count 0
		.amdhsa_exception_fp_ieee_invalid_op 0
		.amdhsa_exception_fp_denorm_src 0
		.amdhsa_exception_fp_ieee_div_zero 0
		.amdhsa_exception_fp_ieee_overflow 0
		.amdhsa_exception_fp_ieee_underflow 0
		.amdhsa_exception_fp_ieee_inexact 0
		.amdhsa_exception_int_div_zero 0
	.end_amdhsa_kernel
	.section	.text._ZN9rocsparseL25csr2bsr_nnz_65_inf_kernelILj32EllEEvT1_S1_S1_S1_S1_S1_21rocsparse_index_base_PKT0_PKS1_S2_PS3_S8_,"axG",@progbits,_ZN9rocsparseL25csr2bsr_nnz_65_inf_kernelILj32EllEEvT1_S1_S1_S1_S1_S1_21rocsparse_index_base_PKT0_PKS1_S2_PS3_S8_,comdat
.Lfunc_end42:
	.size	_ZN9rocsparseL25csr2bsr_nnz_65_inf_kernelILj32EllEEvT1_S1_S1_S1_S1_S1_21rocsparse_index_base_PKT0_PKS1_S2_PS3_S8_, .Lfunc_end42-_ZN9rocsparseL25csr2bsr_nnz_65_inf_kernelILj32EllEEvT1_S1_S1_S1_S1_S1_21rocsparse_index_base_PKT0_PKS1_S2_PS3_S8_
                                        ; -- End function
	.set _ZN9rocsparseL25csr2bsr_nnz_65_inf_kernelILj32EllEEvT1_S1_S1_S1_S1_S1_21rocsparse_index_base_PKT0_PKS1_S2_PS3_S8_.num_vgpr, 37
	.set _ZN9rocsparseL25csr2bsr_nnz_65_inf_kernelILj32EllEEvT1_S1_S1_S1_S1_S1_21rocsparse_index_base_PKT0_PKS1_S2_PS3_S8_.num_agpr, 0
	.set _ZN9rocsparseL25csr2bsr_nnz_65_inf_kernelILj32EllEEvT1_S1_S1_S1_S1_S1_21rocsparse_index_base_PKT0_PKS1_S2_PS3_S8_.numbered_sgpr, 43
	.set _ZN9rocsparseL25csr2bsr_nnz_65_inf_kernelILj32EllEEvT1_S1_S1_S1_S1_S1_21rocsparse_index_base_PKT0_PKS1_S2_PS3_S8_.num_named_barrier, 0
	.set _ZN9rocsparseL25csr2bsr_nnz_65_inf_kernelILj32EllEEvT1_S1_S1_S1_S1_S1_21rocsparse_index_base_PKT0_PKS1_S2_PS3_S8_.private_seg_size, 0
	.set _ZN9rocsparseL25csr2bsr_nnz_65_inf_kernelILj32EllEEvT1_S1_S1_S1_S1_S1_21rocsparse_index_base_PKT0_PKS1_S2_PS3_S8_.uses_vcc, 1
	.set _ZN9rocsparseL25csr2bsr_nnz_65_inf_kernelILj32EllEEvT1_S1_S1_S1_S1_S1_21rocsparse_index_base_PKT0_PKS1_S2_PS3_S8_.uses_flat_scratch, 0
	.set _ZN9rocsparseL25csr2bsr_nnz_65_inf_kernelILj32EllEEvT1_S1_S1_S1_S1_S1_21rocsparse_index_base_PKT0_PKS1_S2_PS3_S8_.has_dyn_sized_stack, 0
	.set _ZN9rocsparseL25csr2bsr_nnz_65_inf_kernelILj32EllEEvT1_S1_S1_S1_S1_S1_21rocsparse_index_base_PKT0_PKS1_S2_PS3_S8_.has_recursion, 0
	.set _ZN9rocsparseL25csr2bsr_nnz_65_inf_kernelILj32EllEEvT1_S1_S1_S1_S1_S1_21rocsparse_index_base_PKT0_PKS1_S2_PS3_S8_.has_indirect_call, 0
	.section	.AMDGPU.csdata,"",@progbits
; Kernel info:
; codeLenInByte = 2120
; TotalNumSgprs: 45
; NumVgprs: 37
; ScratchSize: 0
; MemoryBound: 0
; FloatMode: 240
; IeeeMode: 1
; LDSByteSize: 0 bytes/workgroup (compile time only)
; SGPRBlocks: 0
; VGPRBlocks: 4
; NumSGPRsForWavesPerEU: 45
; NumVGPRsForWavesPerEU: 37
; Occupancy: 16
; WaveLimiterHint : 0
; COMPUTE_PGM_RSRC2:SCRATCH_EN: 0
; COMPUTE_PGM_RSRC2:USER_SGPR: 6
; COMPUTE_PGM_RSRC2:TRAP_HANDLER: 0
; COMPUTE_PGM_RSRC2:TGID_X_EN: 1
; COMPUTE_PGM_RSRC2:TGID_Y_EN: 0
; COMPUTE_PGM_RSRC2:TGID_Z_EN: 0
; COMPUTE_PGM_RSRC2:TIDIG_COMP_CNT: 0
	.section	.text._ZN9rocsparseL36csr2bsr_nnz_compute_nnz_total_kernelILj1EllEEvT1_PKT0_PS2_,"axG",@progbits,_ZN9rocsparseL36csr2bsr_nnz_compute_nnz_total_kernelILj1EllEEvT1_PKT0_PS2_,comdat
	.globl	_ZN9rocsparseL36csr2bsr_nnz_compute_nnz_total_kernelILj1EllEEvT1_PKT0_PS2_ ; -- Begin function _ZN9rocsparseL36csr2bsr_nnz_compute_nnz_total_kernelILj1EllEEvT1_PKT0_PS2_
	.p2align	8
	.type	_ZN9rocsparseL36csr2bsr_nnz_compute_nnz_total_kernelILj1EllEEvT1_PKT0_PS2_,@function
_ZN9rocsparseL36csr2bsr_nnz_compute_nnz_total_kernelILj1EllEEvT1_PKT0_PS2_: ; @_ZN9rocsparseL36csr2bsr_nnz_compute_nnz_total_kernelILj1EllEEvT1_PKT0_PS2_
; %bb.0:
	s_sub_i32 s0, 0, s6
	s_cmp_lg_u32 s0, 0
	s_cbranch_scc1 .LBB43_2
; %bb.1:
	s_clause 0x1
	s_load_dwordx4 s[0:3], s[4:5], 0x0
	s_load_dwordx2 s[4:5], s[4:5], 0x10
	v_mov_b32_e32 v2, 0
	s_waitcnt lgkmcnt(0)
	s_lshl_b64 s[0:1], s[0:1], 3
	s_add_u32 s0, s2, s0
	s_addc_u32 s1, s3, s1
	s_clause 0x1
	s_load_dwordx2 s[0:1], s[0:1], 0x0
	s_load_dwordx2 s[2:3], s[2:3], 0x0
	s_waitcnt lgkmcnt(0)
	s_sub_u32 s0, s0, s2
	s_subb_u32 s1, s1, s3
	v_mov_b32_e32 v0, s0
	v_mov_b32_e32 v1, s1
	global_store_dwordx2 v2, v[0:1], s[4:5]
.LBB43_2:
	s_endpgm
	.section	.rodata,"a",@progbits
	.p2align	6, 0x0
	.amdhsa_kernel _ZN9rocsparseL36csr2bsr_nnz_compute_nnz_total_kernelILj1EllEEvT1_PKT0_PS2_
		.amdhsa_group_segment_fixed_size 0
		.amdhsa_private_segment_fixed_size 0
		.amdhsa_kernarg_size 24
		.amdhsa_user_sgpr_count 6
		.amdhsa_user_sgpr_private_segment_buffer 1
		.amdhsa_user_sgpr_dispatch_ptr 0
		.amdhsa_user_sgpr_queue_ptr 0
		.amdhsa_user_sgpr_kernarg_segment_ptr 1
		.amdhsa_user_sgpr_dispatch_id 0
		.amdhsa_user_sgpr_flat_scratch_init 0
		.amdhsa_user_sgpr_private_segment_size 0
		.amdhsa_wavefront_size32 1
		.amdhsa_uses_dynamic_stack 0
		.amdhsa_system_sgpr_private_segment_wavefront_offset 0
		.amdhsa_system_sgpr_workgroup_id_x 1
		.amdhsa_system_sgpr_workgroup_id_y 0
		.amdhsa_system_sgpr_workgroup_id_z 0
		.amdhsa_system_sgpr_workgroup_info 0
		.amdhsa_system_vgpr_workitem_id 0
		.amdhsa_next_free_vgpr 3
		.amdhsa_next_free_sgpr 7
		.amdhsa_reserve_vcc 0
		.amdhsa_reserve_flat_scratch 0
		.amdhsa_float_round_mode_32 0
		.amdhsa_float_round_mode_16_64 0
		.amdhsa_float_denorm_mode_32 3
		.amdhsa_float_denorm_mode_16_64 3
		.amdhsa_dx10_clamp 1
		.amdhsa_ieee_mode 1
		.amdhsa_fp16_overflow 0
		.amdhsa_workgroup_processor_mode 1
		.amdhsa_memory_ordered 1
		.amdhsa_forward_progress 1
		.amdhsa_shared_vgpr_count 0
		.amdhsa_exception_fp_ieee_invalid_op 0
		.amdhsa_exception_fp_denorm_src 0
		.amdhsa_exception_fp_ieee_div_zero 0
		.amdhsa_exception_fp_ieee_overflow 0
		.amdhsa_exception_fp_ieee_underflow 0
		.amdhsa_exception_fp_ieee_inexact 0
		.amdhsa_exception_int_div_zero 0
	.end_amdhsa_kernel
	.section	.text._ZN9rocsparseL36csr2bsr_nnz_compute_nnz_total_kernelILj1EllEEvT1_PKT0_PS2_,"axG",@progbits,_ZN9rocsparseL36csr2bsr_nnz_compute_nnz_total_kernelILj1EllEEvT1_PKT0_PS2_,comdat
.Lfunc_end43:
	.size	_ZN9rocsparseL36csr2bsr_nnz_compute_nnz_total_kernelILj1EllEEvT1_PKT0_PS2_, .Lfunc_end43-_ZN9rocsparseL36csr2bsr_nnz_compute_nnz_total_kernelILj1EllEEvT1_PKT0_PS2_
                                        ; -- End function
	.set _ZN9rocsparseL36csr2bsr_nnz_compute_nnz_total_kernelILj1EllEEvT1_PKT0_PS2_.num_vgpr, 3
	.set _ZN9rocsparseL36csr2bsr_nnz_compute_nnz_total_kernelILj1EllEEvT1_PKT0_PS2_.num_agpr, 0
	.set _ZN9rocsparseL36csr2bsr_nnz_compute_nnz_total_kernelILj1EllEEvT1_PKT0_PS2_.numbered_sgpr, 7
	.set _ZN9rocsparseL36csr2bsr_nnz_compute_nnz_total_kernelILj1EllEEvT1_PKT0_PS2_.num_named_barrier, 0
	.set _ZN9rocsparseL36csr2bsr_nnz_compute_nnz_total_kernelILj1EllEEvT1_PKT0_PS2_.private_seg_size, 0
	.set _ZN9rocsparseL36csr2bsr_nnz_compute_nnz_total_kernelILj1EllEEvT1_PKT0_PS2_.uses_vcc, 0
	.set _ZN9rocsparseL36csr2bsr_nnz_compute_nnz_total_kernelILj1EllEEvT1_PKT0_PS2_.uses_flat_scratch, 0
	.set _ZN9rocsparseL36csr2bsr_nnz_compute_nnz_total_kernelILj1EllEEvT1_PKT0_PS2_.has_dyn_sized_stack, 0
	.set _ZN9rocsparseL36csr2bsr_nnz_compute_nnz_total_kernelILj1EllEEvT1_PKT0_PS2_.has_recursion, 0
	.set _ZN9rocsparseL36csr2bsr_nnz_compute_nnz_total_kernelILj1EllEEvT1_PKT0_PS2_.has_indirect_call, 0
	.section	.AMDGPU.csdata,"",@progbits
; Kernel info:
; codeLenInByte = 104
; TotalNumSgprs: 7
; NumVgprs: 3
; ScratchSize: 0
; MemoryBound: 0
; FloatMode: 240
; IeeeMode: 1
; LDSByteSize: 0 bytes/workgroup (compile time only)
; SGPRBlocks: 0
; VGPRBlocks: 0
; NumSGPRsForWavesPerEU: 7
; NumVGPRsForWavesPerEU: 3
; Occupancy: 16
; WaveLimiterHint : 0
; COMPUTE_PGM_RSRC2:SCRATCH_EN: 0
; COMPUTE_PGM_RSRC2:USER_SGPR: 6
; COMPUTE_PGM_RSRC2:TRAP_HANDLER: 0
; COMPUTE_PGM_RSRC2:TGID_X_EN: 1
; COMPUTE_PGM_RSRC2:TGID_Y_EN: 0
; COMPUTE_PGM_RSRC2:TGID_Z_EN: 0
; COMPUTE_PGM_RSRC2:TIDIG_COMP_CNT: 0
	.section	.AMDGPU.gpr_maximums,"",@progbits
	.set amdgpu.max_num_vgpr, 0
	.set amdgpu.max_num_agpr, 0
	.set amdgpu.max_num_sgpr, 0
	.section	.AMDGPU.csdata,"",@progbits
	.type	__hip_cuid_b836e62b534d3a50,@object ; @__hip_cuid_b836e62b534d3a50
	.section	.bss,"aw",@nobits
	.globl	__hip_cuid_b836e62b534d3a50
__hip_cuid_b836e62b534d3a50:
	.byte	0                               ; 0x0
	.size	__hip_cuid_b836e62b534d3a50, 1

	.ident	"AMD clang version 22.0.0git (https://github.com/RadeonOpenCompute/llvm-project roc-7.2.4 26084 f58b06dce1f9c15707c5f808fd002e18c2accf7e)"
	.section	".note.GNU-stack","",@progbits
	.addrsig
	.addrsig_sym __hip_cuid_b836e62b534d3a50
	.amdgpu_metadata
---
amdhsa.kernels:
  - .args:
      - .offset:         0
        .size:           4
        .value_kind:     by_value
      - .offset:         4
        .size:           4
        .value_kind:     by_value
      - .actual_access:  read_only
        .address_space:  global
        .offset:         8
        .size:           8
        .value_kind:     global_buffer
      - .offset:         16
        .size:           4
        .value_kind:     by_value
      - .actual_access:  write_only
        .address_space:  global
        .offset:         24
        .size:           8
        .value_kind:     global_buffer
      - .actual_access:  write_only
        .address_space:  global
        .offset:         32
        .size:           8
        .value_kind:     global_buffer
      - .offset:         40
        .size:           4
        .value_kind:     hidden_block_count_x
      - .offset:         44
        .size:           4
        .value_kind:     hidden_block_count_y
      - .offset:         48
        .size:           4
        .value_kind:     hidden_block_count_z
      - .offset:         52
        .size:           2
        .value_kind:     hidden_group_size_x
      - .offset:         54
        .size:           2
        .value_kind:     hidden_group_size_y
      - .offset:         56
        .size:           2
        .value_kind:     hidden_group_size_z
      - .offset:         58
        .size:           2
        .value_kind:     hidden_remainder_x
      - .offset:         60
        .size:           2
        .value_kind:     hidden_remainder_y
      - .offset:         62
        .size:           2
        .value_kind:     hidden_remainder_z
      - .offset:         80
        .size:           8
        .value_kind:     hidden_global_offset_x
      - .offset:         88
        .size:           8
        .value_kind:     hidden_global_offset_y
      - .offset:         96
        .size:           8
        .value_kind:     hidden_global_offset_z
      - .offset:         104
        .size:           2
        .value_kind:     hidden_grid_dims
    .group_segment_fixed_size: 0
    .kernarg_segment_align: 8
    .kernarg_segment_size: 296
    .language:       OpenCL C
    .language_version:
      - 2
      - 0
    .max_flat_workgroup_size: 256
    .name:           _ZN9rocsparseL39csr2bsr_nnz_block_dim_equals_one_kernelILj256EiiEEvT1_21rocsparse_index_base_PKT0_S2_PS3_S6_
    .private_segment_fixed_size: 0
    .sgpr_count:     12
    .sgpr_spill_count: 0
    .symbol:         _ZN9rocsparseL39csr2bsr_nnz_block_dim_equals_one_kernelILj256EiiEEvT1_21rocsparse_index_base_PKT0_S2_PS3_S6_.kd
    .uniform_work_group_size: 1
    .uses_dynamic_stack: false
    .vgpr_count:     5
    .vgpr_spill_count: 0
    .wavefront_size: 32
    .workgroup_processor_mode: 1
  - .args:
      - .offset:         0
        .size:           4
        .value_kind:     by_value
      - .offset:         4
        .size:           4
        .value_kind:     by_value
      - .actual_access:  read_only
        .address_space:  global
        .offset:         8
        .size:           8
        .value_kind:     global_buffer
      - .offset:         16
        .size:           4
        .value_kind:     by_value
      - .actual_access:  write_only
        .address_space:  global
        .offset:         24
        .size:           8
        .value_kind:     global_buffer
    .group_segment_fixed_size: 0
    .kernarg_segment_align: 8
    .kernarg_segment_size: 32
    .language:       OpenCL C
    .language_version:
      - 2
      - 0
    .max_flat_workgroup_size: 256
    .name:           _ZN9rocsparseL39csr2bsr_nnz_block_dim_equals_one_kernelILj256EiiEEvT1_21rocsparse_index_base_PKT0_S2_PS3_
    .private_segment_fixed_size: 0
    .sgpr_count:     9
    .sgpr_spill_count: 0
    .symbol:         _ZN9rocsparseL39csr2bsr_nnz_block_dim_equals_one_kernelILj256EiiEEvT1_21rocsparse_index_base_PKT0_S2_PS3_.kd
    .uniform_work_group_size: 1
    .uses_dynamic_stack: false
    .vgpr_count:     4
    .vgpr_spill_count: 0
    .wavefront_size: 32
    .workgroup_processor_mode: 1
  - .args:
      - .offset:         0
        .size:           4
        .value_kind:     by_value
      - .offset:         4
        .size:           4
        .value_kind:     by_value
      - .offset:         8
        .size:           4
        .value_kind:     by_value
      - .offset:         12
        .size:           4
        .value_kind:     by_value
      - .offset:         16
        .size:           4
        .value_kind:     by_value
      - .offset:         20
        .size:           4
        .value_kind:     by_value
      - .actual_access:  read_only
        .address_space:  global
        .offset:         24
        .size:           8
        .value_kind:     global_buffer
      - .actual_access:  read_only
        .address_space:  global
        .offset:         32
        .size:           8
        .value_kind:     global_buffer
      - .offset:         40
        .size:           4
        .value_kind:     by_value
      - .actual_access:  write_only
        .address_space:  global
        .offset:         48
        .size:           8
        .value_kind:     global_buffer
    .group_segment_fixed_size: 80
    .kernarg_segment_align: 8
    .kernarg_segment_size: 56
    .language:       OpenCL C
    .language_version:
      - 2
      - 0
    .max_flat_workgroup_size: 256
    .name:           _ZN9rocsparseL46csr2bsr_nnz_wavefront_per_row_multipass_kernelILj256ELj16ELj4EiiEEvT3_S1_S1_S1_S1_21rocsparse_index_base_PKT2_PKS1_S2_PS3_
    .private_segment_fixed_size: 0
    .sgpr_count:     17
    .sgpr_spill_count: 0
    .symbol:         _ZN9rocsparseL46csr2bsr_nnz_wavefront_per_row_multipass_kernelILj256ELj16ELj4EiiEEvT3_S1_S1_S1_S1_21rocsparse_index_base_PKT2_PKS1_S2_PS3_.kd
    .uniform_work_group_size: 1
    .uses_dynamic_stack: false
    .vgpr_count:     24
    .vgpr_spill_count: 0
    .wavefront_size: 32
    .workgroup_processor_mode: 1
  - .args:
      - .offset:         0
        .size:           4
        .value_kind:     by_value
      - .offset:         4
        .size:           4
        .value_kind:     by_value
      - .offset:         8
        .size:           4
        .value_kind:     by_value
      - .offset:         12
        .size:           4
        .value_kind:     by_value
      - .offset:         16
        .size:           4
        .value_kind:     by_value
      - .offset:         20
        .size:           4
        .value_kind:     by_value
      - .actual_access:  read_only
        .address_space:  global
        .offset:         24
        .size:           8
        .value_kind:     global_buffer
      - .actual_access:  read_only
        .address_space:  global
        .offset:         32
        .size:           8
        .value_kind:     global_buffer
      - .offset:         40
        .size:           4
        .value_kind:     by_value
      - .actual_access:  write_only
        .address_space:  global
        .offset:         48
        .size:           8
        .value_kind:     global_buffer
    .group_segment_fixed_size: 20
    .kernarg_segment_align: 8
    .kernarg_segment_size: 56
    .language:       OpenCL C
    .language_version:
      - 2
      - 0
    .max_flat_workgroup_size: 256
    .name:           _ZN9rocsparseL46csr2bsr_nnz_wavefront_per_row_multipass_kernelILj256ELj64ELj8EiiEEvT3_S1_S1_S1_S1_21rocsparse_index_base_PKT2_PKS1_S2_PS3_
    .private_segment_fixed_size: 0
    .sgpr_count:     17
    .sgpr_spill_count: 0
    .symbol:         _ZN9rocsparseL46csr2bsr_nnz_wavefront_per_row_multipass_kernelILj256ELj64ELj8EiiEEvT3_S1_S1_S1_S1_21rocsparse_index_base_PKT2_PKS1_S2_PS3_.kd
    .uniform_work_group_size: 1
    .uses_dynamic_stack: false
    .vgpr_count:     26
    .vgpr_spill_count: 0
    .wavefront_size: 32
    .workgroup_processor_mode: 1
  - .args:
      - .offset:         0
        .size:           4
        .value_kind:     by_value
      - .offset:         4
        .size:           4
        .value_kind:     by_value
      - .offset:         8
        .size:           4
        .value_kind:     by_value
      - .offset:         12
        .size:           4
        .value_kind:     by_value
      - .offset:         16
        .size:           4
        .value_kind:     by_value
      - .offset:         20
        .size:           4
        .value_kind:     by_value
      - .actual_access:  read_only
        .address_space:  global
        .offset:         24
        .size:           8
        .value_kind:     global_buffer
      - .actual_access:  read_only
        .address_space:  global
        .offset:         32
        .size:           8
        .value_kind:     global_buffer
      - .offset:         40
        .size:           4
        .value_kind:     by_value
      - .actual_access:  write_only
        .address_space:  global
        .offset:         48
        .size:           8
        .value_kind:     global_buffer
    .group_segment_fixed_size: 40
    .kernarg_segment_align: 8
    .kernarg_segment_size: 56
    .language:       OpenCL C
    .language_version:
      - 2
      - 0
    .max_flat_workgroup_size: 256
    .name:           _ZN9rocsparseL46csr2bsr_nnz_wavefront_per_row_multipass_kernelILj256ELj32ELj8EiiEEvT3_S1_S1_S1_S1_21rocsparse_index_base_PKT2_PKS1_S2_PS3_
    .private_segment_fixed_size: 0
    .sgpr_count:     17
    .sgpr_spill_count: 0
    .symbol:         _ZN9rocsparseL46csr2bsr_nnz_wavefront_per_row_multipass_kernelILj256ELj32ELj8EiiEEvT3_S1_S1_S1_S1_21rocsparse_index_base_PKT2_PKS1_S2_PS3_.kd
    .uniform_work_group_size: 1
    .uses_dynamic_stack: false
    .vgpr_count:     25
    .vgpr_spill_count: 0
    .wavefront_size: 32
    .workgroup_processor_mode: 1
  - .args:
      - .offset:         0
        .size:           4
        .value_kind:     by_value
      - .offset:         4
        .size:           4
        .value_kind:     by_value
      - .offset:         8
        .size:           4
        .value_kind:     by_value
      - .offset:         12
        .size:           4
        .value_kind:     by_value
      - .offset:         16
        .size:           4
        .value_kind:     by_value
      - .offset:         20
        .size:           4
        .value_kind:     by_value
      - .actual_access:  read_only
        .address_space:  global
        .offset:         24
        .size:           8
        .value_kind:     global_buffer
      - .actual_access:  read_only
        .address_space:  global
        .offset:         32
        .size:           8
        .value_kind:     global_buffer
      - .offset:         40
        .size:           4
        .value_kind:     by_value
      - .actual_access:  write_only
        .address_space:  global
        .offset:         48
        .size:           8
        .value_kind:     global_buffer
    .group_segment_fixed_size: 20
    .kernarg_segment_align: 8
    .kernarg_segment_size: 56
    .language:       OpenCL C
    .language_version:
      - 2
      - 0
    .max_flat_workgroup_size: 256
    .name:           _ZN9rocsparseL46csr2bsr_nnz_wavefront_per_row_multipass_kernelILj256ELj64ELj16EiiEEvT3_S1_S1_S1_S1_21rocsparse_index_base_PKT2_PKS1_S2_PS3_
    .private_segment_fixed_size: 0
    .sgpr_count:     17
    .sgpr_spill_count: 0
    .symbol:         _ZN9rocsparseL46csr2bsr_nnz_wavefront_per_row_multipass_kernelILj256ELj64ELj16EiiEEvT3_S1_S1_S1_S1_21rocsparse_index_base_PKT2_PKS1_S2_PS3_.kd
    .uniform_work_group_size: 1
    .uses_dynamic_stack: false
    .vgpr_count:     26
    .vgpr_spill_count: 0
    .wavefront_size: 32
    .workgroup_processor_mode: 1
  - .args:
      - .offset:         0
        .size:           4
        .value_kind:     by_value
      - .offset:         4
        .size:           4
        .value_kind:     by_value
      - .offset:         8
        .size:           4
        .value_kind:     by_value
      - .offset:         12
        .size:           4
        .value_kind:     by_value
      - .offset:         16
        .size:           4
        .value_kind:     by_value
      - .offset:         20
        .size:           4
        .value_kind:     by_value
      - .actual_access:  read_only
        .address_space:  global
        .offset:         24
        .size:           8
        .value_kind:     global_buffer
      - .actual_access:  read_only
        .address_space:  global
        .offset:         32
        .size:           8
        .value_kind:     global_buffer
      - .offset:         40
        .size:           4
        .value_kind:     by_value
      - .actual_access:  write_only
        .address_space:  global
        .offset:         48
        .size:           8
        .value_kind:     global_buffer
    .group_segment_fixed_size: 40
    .kernarg_segment_align: 8
    .kernarg_segment_size: 56
    .language:       OpenCL C
    .language_version:
      - 2
      - 0
    .max_flat_workgroup_size: 256
    .name:           _ZN9rocsparseL46csr2bsr_nnz_wavefront_per_row_multipass_kernelILj256ELj32ELj16EiiEEvT3_S1_S1_S1_S1_21rocsparse_index_base_PKT2_PKS1_S2_PS3_
    .private_segment_fixed_size: 0
    .sgpr_count:     17
    .sgpr_spill_count: 0
    .symbol:         _ZN9rocsparseL46csr2bsr_nnz_wavefront_per_row_multipass_kernelILj256ELj32ELj16EiiEEvT3_S1_S1_S1_S1_21rocsparse_index_base_PKT2_PKS1_S2_PS3_.kd
    .uniform_work_group_size: 1
    .uses_dynamic_stack: false
    .vgpr_count:     25
    .vgpr_spill_count: 0
    .wavefront_size: 32
    .workgroup_processor_mode: 1
  - .args:
      - .offset:         0
        .size:           4
        .value_kind:     by_value
      - .offset:         4
        .size:           4
        .value_kind:     by_value
      - .offset:         8
        .size:           4
        .value_kind:     by_value
      - .offset:         12
        .size:           4
        .value_kind:     by_value
      - .offset:         16
        .size:           4
        .value_kind:     by_value
      - .offset:         20
        .size:           4
        .value_kind:     by_value
      - .actual_access:  read_only
        .address_space:  global
        .offset:         24
        .size:           8
        .value_kind:     global_buffer
      - .actual_access:  read_only
        .address_space:  global
        .offset:         32
        .size:           8
        .value_kind:     global_buffer
      - .offset:         40
        .size:           4
        .value_kind:     by_value
      - .actual_access:  write_only
        .address_space:  global
        .offset:         48
        .size:           8
        .value_kind:     global_buffer
    .group_segment_fixed_size: 1032
    .kernarg_segment_align: 8
    .kernarg_segment_size: 56
    .language:       OpenCL C
    .language_version:
      - 2
      - 0
    .max_flat_workgroup_size: 256
    .name:           _ZN9rocsparseL42csr2bsr_nnz_block_per_row_multipass_kernelILj256ELj32EiiEEvT2_S1_S1_S1_S1_21rocsparse_index_base_PKT1_PKS1_S2_PS3_
    .private_segment_fixed_size: 0
    .sgpr_count:     23
    .sgpr_spill_count: 0
    .symbol:         _ZN9rocsparseL42csr2bsr_nnz_block_per_row_multipass_kernelILj256ELj32EiiEEvT2_S1_S1_S1_S1_21rocsparse_index_base_PKT1_PKS1_S2_PS3_.kd
    .uniform_work_group_size: 1
    .uses_dynamic_stack: false
    .vgpr_count:     20
    .vgpr_spill_count: 0
    .wavefront_size: 32
    .workgroup_processor_mode: 1
  - .args:
      - .offset:         0
        .size:           4
        .value_kind:     by_value
      - .offset:         4
        .size:           4
        .value_kind:     by_value
      - .offset:         8
        .size:           4
        .value_kind:     by_value
      - .offset:         12
        .size:           4
        .value_kind:     by_value
      - .offset:         16
        .size:           4
        .value_kind:     by_value
      - .offset:         20
        .size:           4
        .value_kind:     by_value
      - .actual_access:  read_only
        .address_space:  global
        .offset:         24
        .size:           8
        .value_kind:     global_buffer
      - .actual_access:  read_only
        .address_space:  global
        .offset:         32
        .size:           8
        .value_kind:     global_buffer
      - .offset:         40
        .size:           4
        .value_kind:     by_value
      - .actual_access:  write_only
        .address_space:  global
        .offset:         48
        .size:           8
        .value_kind:     global_buffer
    .group_segment_fixed_size: 1032
    .kernarg_segment_align: 8
    .kernarg_segment_size: 56
    .language:       OpenCL C
    .language_version:
      - 2
      - 0
    .max_flat_workgroup_size: 256
    .name:           _ZN9rocsparseL42csr2bsr_nnz_block_per_row_multipass_kernelILj256ELj64EiiEEvT2_S1_S1_S1_S1_21rocsparse_index_base_PKT1_PKS1_S2_PS3_
    .private_segment_fixed_size: 0
    .sgpr_count:     23
    .sgpr_spill_count: 0
    .symbol:         _ZN9rocsparseL42csr2bsr_nnz_block_per_row_multipass_kernelILj256ELj64EiiEEvT2_S1_S1_S1_S1_21rocsparse_index_base_PKT1_PKS1_S2_PS3_.kd
    .uniform_work_group_size: 1
    .uses_dynamic_stack: false
    .vgpr_count:     19
    .vgpr_spill_count: 0
    .wavefront_size: 32
    .workgroup_processor_mode: 1
  - .args:
      - .offset:         0
        .size:           4
        .value_kind:     by_value
      - .offset:         4
        .size:           4
        .value_kind:     by_value
      - .offset:         8
        .size:           4
        .value_kind:     by_value
      - .offset:         12
        .size:           4
        .value_kind:     by_value
      - .offset:         16
        .size:           4
        .value_kind:     by_value
      - .offset:         20
        .size:           4
        .value_kind:     by_value
      - .offset:         24
        .size:           4
        .value_kind:     by_value
      - .actual_access:  read_only
        .address_space:  global
        .offset:         32
        .size:           8
        .value_kind:     global_buffer
      - .actual_access:  read_only
        .address_space:  global
        .offset:         40
        .size:           8
        .value_kind:     global_buffer
      - .offset:         48
        .size:           4
        .value_kind:     by_value
      - .actual_access:  write_only
        .address_space:  global
        .offset:         56
        .size:           8
        .value_kind:     global_buffer
      - .address_space:  global
        .offset:         64
        .size:           8
        .value_kind:     global_buffer
    .group_segment_fixed_size: 0
    .kernarg_segment_align: 8
    .kernarg_segment_size: 72
    .language:       OpenCL C
    .language_version:
      - 2
      - 0
    .max_flat_workgroup_size: 32
    .name:           _ZN9rocsparseL25csr2bsr_nnz_65_inf_kernelILj32EiiEEvT1_S1_S1_S1_S1_S1_21rocsparse_index_base_PKT0_PKS1_S2_PS3_S8_
    .private_segment_fixed_size: 0
    .sgpr_count:     27
    .sgpr_spill_count: 0
    .symbol:         _ZN9rocsparseL25csr2bsr_nnz_65_inf_kernelILj32EiiEEvT1_S1_S1_S1_S1_S1_21rocsparse_index_base_PKT0_PKS1_S2_PS3_S8_.kd
    .uniform_work_group_size: 1
    .uses_dynamic_stack: false
    .vgpr_count:     26
    .vgpr_spill_count: 0
    .wavefront_size: 32
    .workgroup_processor_mode: 1
  - .args:
      - .offset:         0
        .size:           4
        .value_kind:     by_value
      - .actual_access:  read_only
        .address_space:  global
        .offset:         8
        .size:           8
        .value_kind:     global_buffer
      - .actual_access:  write_only
        .address_space:  global
        .offset:         16
        .size:           8
        .value_kind:     global_buffer
    .group_segment_fixed_size: 0
    .kernarg_segment_align: 8
    .kernarg_segment_size: 24
    .language:       OpenCL C
    .language_version:
      - 2
      - 0
    .max_flat_workgroup_size: 1
    .name:           _ZN9rocsparseL36csr2bsr_nnz_compute_nnz_total_kernelILj1EiiEEvT1_PKT0_PS2_
    .private_segment_fixed_size: 0
    .sgpr_count:     8
    .sgpr_spill_count: 0
    .symbol:         _ZN9rocsparseL36csr2bsr_nnz_compute_nnz_total_kernelILj1EiiEEvT1_PKT0_PS2_.kd
    .uniform_work_group_size: 1
    .uses_dynamic_stack: false
    .vgpr_count:     2
    .vgpr_spill_count: 0
    .wavefront_size: 32
    .workgroup_processor_mode: 1
  - .args:
      - .offset:         0
        .size:           4
        .value_kind:     by_value
      - .offset:         4
        .size:           4
        .value_kind:     by_value
      - .actual_access:  read_only
        .address_space:  global
        .offset:         8
        .size:           8
        .value_kind:     global_buffer
      - .offset:         16
        .size:           4
        .value_kind:     by_value
      - .actual_access:  write_only
        .address_space:  global
        .offset:         24
        .size:           8
        .value_kind:     global_buffer
      - .actual_access:  write_only
        .address_space:  global
        .offset:         32
        .size:           8
        .value_kind:     global_buffer
      - .offset:         40
        .size:           4
        .value_kind:     hidden_block_count_x
      - .offset:         44
        .size:           4
        .value_kind:     hidden_block_count_y
      - .offset:         48
        .size:           4
        .value_kind:     hidden_block_count_z
      - .offset:         52
        .size:           2
        .value_kind:     hidden_group_size_x
      - .offset:         54
        .size:           2
        .value_kind:     hidden_group_size_y
      - .offset:         56
        .size:           2
        .value_kind:     hidden_group_size_z
      - .offset:         58
        .size:           2
        .value_kind:     hidden_remainder_x
      - .offset:         60
        .size:           2
        .value_kind:     hidden_remainder_y
      - .offset:         62
        .size:           2
        .value_kind:     hidden_remainder_z
      - .offset:         80
        .size:           8
        .value_kind:     hidden_global_offset_x
      - .offset:         88
        .size:           8
        .value_kind:     hidden_global_offset_y
      - .offset:         96
        .size:           8
        .value_kind:     hidden_global_offset_z
      - .offset:         104
        .size:           2
        .value_kind:     hidden_grid_dims
    .group_segment_fixed_size: 0
    .kernarg_segment_align: 8
    .kernarg_segment_size: 296
    .language:       OpenCL C
    .language_version:
      - 2
      - 0
    .max_flat_workgroup_size: 256
    .name:           _ZN9rocsparseL39csr2bsr_nnz_block_dim_equals_one_kernelILj256EliEEvT1_21rocsparse_index_base_PKT0_S2_PS3_S6_
    .private_segment_fixed_size: 0
    .sgpr_count:     12
    .sgpr_spill_count: 0
    .symbol:         _ZN9rocsparseL39csr2bsr_nnz_block_dim_equals_one_kernelILj256EliEEvT1_21rocsparse_index_base_PKT0_S2_PS3_S6_.kd
    .uniform_work_group_size: 1
    .uses_dynamic_stack: false
    .vgpr_count:     5
    .vgpr_spill_count: 0
    .wavefront_size: 32
    .workgroup_processor_mode: 1
  - .args:
      - .offset:         0
        .size:           4
        .value_kind:     by_value
      - .offset:         4
        .size:           4
        .value_kind:     by_value
      - .actual_access:  read_only
        .address_space:  global
        .offset:         8
        .size:           8
        .value_kind:     global_buffer
      - .offset:         16
        .size:           4
        .value_kind:     by_value
      - .actual_access:  write_only
        .address_space:  global
        .offset:         24
        .size:           8
        .value_kind:     global_buffer
    .group_segment_fixed_size: 0
    .kernarg_segment_align: 8
    .kernarg_segment_size: 32
    .language:       OpenCL C
    .language_version:
      - 2
      - 0
    .max_flat_workgroup_size: 256
    .name:           _ZN9rocsparseL39csr2bsr_nnz_block_dim_equals_one_kernelILj256EliEEvT1_21rocsparse_index_base_PKT0_S2_PS3_
    .private_segment_fixed_size: 0
    .sgpr_count:     9
    .sgpr_spill_count: 0
    .symbol:         _ZN9rocsparseL39csr2bsr_nnz_block_dim_equals_one_kernelILj256EliEEvT1_21rocsparse_index_base_PKT0_S2_PS3_.kd
    .uniform_work_group_size: 1
    .uses_dynamic_stack: false
    .vgpr_count:     4
    .vgpr_spill_count: 0
    .wavefront_size: 32
    .workgroup_processor_mode: 1
  - .args:
      - .offset:         0
        .size:           4
        .value_kind:     by_value
      - .offset:         4
        .size:           4
        .value_kind:     by_value
      - .offset:         8
        .size:           4
        .value_kind:     by_value
      - .offset:         12
        .size:           4
        .value_kind:     by_value
      - .offset:         16
        .size:           4
        .value_kind:     by_value
      - .offset:         20
        .size:           4
        .value_kind:     by_value
      - .actual_access:  read_only
        .address_space:  global
        .offset:         24
        .size:           8
        .value_kind:     global_buffer
      - .actual_access:  read_only
        .address_space:  global
        .offset:         32
        .size:           8
        .value_kind:     global_buffer
      - .offset:         40
        .size:           4
        .value_kind:     by_value
      - .actual_access:  write_only
        .address_space:  global
        .offset:         48
        .size:           8
        .value_kind:     global_buffer
    .group_segment_fixed_size: 80
    .kernarg_segment_align: 8
    .kernarg_segment_size: 56
    .language:       OpenCL C
    .language_version:
      - 2
      - 0
    .max_flat_workgroup_size: 256
    .name:           _ZN9rocsparseL46csr2bsr_nnz_wavefront_per_row_multipass_kernelILj256ELj16ELj4EliEEvT3_S1_S1_S1_S1_21rocsparse_index_base_PKT2_PKS1_S2_PS3_
    .private_segment_fixed_size: 0
    .sgpr_count:     17
    .sgpr_spill_count: 0
    .symbol:         _ZN9rocsparseL46csr2bsr_nnz_wavefront_per_row_multipass_kernelILj256ELj16ELj4EliEEvT3_S1_S1_S1_S1_21rocsparse_index_base_PKT2_PKS1_S2_PS3_.kd
    .uniform_work_group_size: 1
    .uses_dynamic_stack: false
    .vgpr_count:     30
    .vgpr_spill_count: 0
    .wavefront_size: 32
    .workgroup_processor_mode: 1
  - .args:
      - .offset:         0
        .size:           4
        .value_kind:     by_value
      - .offset:         4
        .size:           4
        .value_kind:     by_value
      - .offset:         8
        .size:           4
        .value_kind:     by_value
      - .offset:         12
        .size:           4
        .value_kind:     by_value
      - .offset:         16
        .size:           4
        .value_kind:     by_value
      - .offset:         20
        .size:           4
        .value_kind:     by_value
      - .actual_access:  read_only
        .address_space:  global
        .offset:         24
        .size:           8
        .value_kind:     global_buffer
      - .actual_access:  read_only
        .address_space:  global
        .offset:         32
        .size:           8
        .value_kind:     global_buffer
      - .offset:         40
        .size:           4
        .value_kind:     by_value
      - .actual_access:  write_only
        .address_space:  global
        .offset:         48
        .size:           8
        .value_kind:     global_buffer
    .group_segment_fixed_size: 20
    .kernarg_segment_align: 8
    .kernarg_segment_size: 56
    .language:       OpenCL C
    .language_version:
      - 2
      - 0
    .max_flat_workgroup_size: 256
    .name:           _ZN9rocsparseL46csr2bsr_nnz_wavefront_per_row_multipass_kernelILj256ELj64ELj8EliEEvT3_S1_S1_S1_S1_21rocsparse_index_base_PKT2_PKS1_S2_PS3_
    .private_segment_fixed_size: 0
    .sgpr_count:     17
    .sgpr_spill_count: 0
    .symbol:         _ZN9rocsparseL46csr2bsr_nnz_wavefront_per_row_multipass_kernelILj256ELj64ELj8EliEEvT3_S1_S1_S1_S1_21rocsparse_index_base_PKT2_PKS1_S2_PS3_.kd
    .uniform_work_group_size: 1
    .uses_dynamic_stack: false
    .vgpr_count:     32
    .vgpr_spill_count: 0
    .wavefront_size: 32
    .workgroup_processor_mode: 1
  - .args:
      - .offset:         0
        .size:           4
        .value_kind:     by_value
      - .offset:         4
        .size:           4
        .value_kind:     by_value
      - .offset:         8
        .size:           4
        .value_kind:     by_value
      - .offset:         12
        .size:           4
        .value_kind:     by_value
      - .offset:         16
        .size:           4
        .value_kind:     by_value
      - .offset:         20
        .size:           4
        .value_kind:     by_value
      - .actual_access:  read_only
        .address_space:  global
        .offset:         24
        .size:           8
        .value_kind:     global_buffer
      - .actual_access:  read_only
        .address_space:  global
        .offset:         32
        .size:           8
        .value_kind:     global_buffer
      - .offset:         40
        .size:           4
        .value_kind:     by_value
      - .actual_access:  write_only
        .address_space:  global
        .offset:         48
        .size:           8
        .value_kind:     global_buffer
    .group_segment_fixed_size: 40
    .kernarg_segment_align: 8
    .kernarg_segment_size: 56
    .language:       OpenCL C
    .language_version:
      - 2
      - 0
    .max_flat_workgroup_size: 256
    .name:           _ZN9rocsparseL46csr2bsr_nnz_wavefront_per_row_multipass_kernelILj256ELj32ELj8EliEEvT3_S1_S1_S1_S1_21rocsparse_index_base_PKT2_PKS1_S2_PS3_
    .private_segment_fixed_size: 0
    .sgpr_count:     17
    .sgpr_spill_count: 0
    .symbol:         _ZN9rocsparseL46csr2bsr_nnz_wavefront_per_row_multipass_kernelILj256ELj32ELj8EliEEvT3_S1_S1_S1_S1_21rocsparse_index_base_PKT2_PKS1_S2_PS3_.kd
    .uniform_work_group_size: 1
    .uses_dynamic_stack: false
    .vgpr_count:     31
    .vgpr_spill_count: 0
    .wavefront_size: 32
    .workgroup_processor_mode: 1
  - .args:
      - .offset:         0
        .size:           4
        .value_kind:     by_value
      - .offset:         4
        .size:           4
        .value_kind:     by_value
      - .offset:         8
        .size:           4
        .value_kind:     by_value
      - .offset:         12
        .size:           4
        .value_kind:     by_value
      - .offset:         16
        .size:           4
        .value_kind:     by_value
      - .offset:         20
        .size:           4
        .value_kind:     by_value
      - .actual_access:  read_only
        .address_space:  global
        .offset:         24
        .size:           8
        .value_kind:     global_buffer
      - .actual_access:  read_only
        .address_space:  global
        .offset:         32
        .size:           8
        .value_kind:     global_buffer
      - .offset:         40
        .size:           4
        .value_kind:     by_value
      - .actual_access:  write_only
        .address_space:  global
        .offset:         48
        .size:           8
        .value_kind:     global_buffer
    .group_segment_fixed_size: 20
    .kernarg_segment_align: 8
    .kernarg_segment_size: 56
    .language:       OpenCL C
    .language_version:
      - 2
      - 0
    .max_flat_workgroup_size: 256
    .name:           _ZN9rocsparseL46csr2bsr_nnz_wavefront_per_row_multipass_kernelILj256ELj64ELj16EliEEvT3_S1_S1_S1_S1_21rocsparse_index_base_PKT2_PKS1_S2_PS3_
    .private_segment_fixed_size: 0
    .sgpr_count:     17
    .sgpr_spill_count: 0
    .symbol:         _ZN9rocsparseL46csr2bsr_nnz_wavefront_per_row_multipass_kernelILj256ELj64ELj16EliEEvT3_S1_S1_S1_S1_21rocsparse_index_base_PKT2_PKS1_S2_PS3_.kd
    .uniform_work_group_size: 1
    .uses_dynamic_stack: false
    .vgpr_count:     32
    .vgpr_spill_count: 0
    .wavefront_size: 32
    .workgroup_processor_mode: 1
  - .args:
      - .offset:         0
        .size:           4
        .value_kind:     by_value
      - .offset:         4
        .size:           4
        .value_kind:     by_value
      - .offset:         8
        .size:           4
        .value_kind:     by_value
      - .offset:         12
        .size:           4
        .value_kind:     by_value
      - .offset:         16
        .size:           4
        .value_kind:     by_value
      - .offset:         20
        .size:           4
        .value_kind:     by_value
      - .actual_access:  read_only
        .address_space:  global
        .offset:         24
        .size:           8
        .value_kind:     global_buffer
      - .actual_access:  read_only
        .address_space:  global
        .offset:         32
        .size:           8
        .value_kind:     global_buffer
      - .offset:         40
        .size:           4
        .value_kind:     by_value
      - .actual_access:  write_only
        .address_space:  global
        .offset:         48
        .size:           8
        .value_kind:     global_buffer
    .group_segment_fixed_size: 40
    .kernarg_segment_align: 8
    .kernarg_segment_size: 56
    .language:       OpenCL C
    .language_version:
      - 2
      - 0
    .max_flat_workgroup_size: 256
    .name:           _ZN9rocsparseL46csr2bsr_nnz_wavefront_per_row_multipass_kernelILj256ELj32ELj16EliEEvT3_S1_S1_S1_S1_21rocsparse_index_base_PKT2_PKS1_S2_PS3_
    .private_segment_fixed_size: 0
    .sgpr_count:     17
    .sgpr_spill_count: 0
    .symbol:         _ZN9rocsparseL46csr2bsr_nnz_wavefront_per_row_multipass_kernelILj256ELj32ELj16EliEEvT3_S1_S1_S1_S1_21rocsparse_index_base_PKT2_PKS1_S2_PS3_.kd
    .uniform_work_group_size: 1
    .uses_dynamic_stack: false
    .vgpr_count:     31
    .vgpr_spill_count: 0
    .wavefront_size: 32
    .workgroup_processor_mode: 1
  - .args:
      - .offset:         0
        .size:           4
        .value_kind:     by_value
      - .offset:         4
        .size:           4
        .value_kind:     by_value
      - .offset:         8
        .size:           4
        .value_kind:     by_value
      - .offset:         12
        .size:           4
        .value_kind:     by_value
      - .offset:         16
        .size:           4
        .value_kind:     by_value
      - .offset:         20
        .size:           4
        .value_kind:     by_value
      - .actual_access:  read_only
        .address_space:  global
        .offset:         24
        .size:           8
        .value_kind:     global_buffer
      - .actual_access:  read_only
        .address_space:  global
        .offset:         32
        .size:           8
        .value_kind:     global_buffer
      - .offset:         40
        .size:           4
        .value_kind:     by_value
      - .actual_access:  write_only
        .address_space:  global
        .offset:         48
        .size:           8
        .value_kind:     global_buffer
    .group_segment_fixed_size: 1032
    .kernarg_segment_align: 8
    .kernarg_segment_size: 56
    .language:       OpenCL C
    .language_version:
      - 2
      - 0
    .max_flat_workgroup_size: 256
    .name:           _ZN9rocsparseL42csr2bsr_nnz_block_per_row_multipass_kernelILj256ELj32EliEEvT2_S1_S1_S1_S1_21rocsparse_index_base_PKT1_PKS1_S2_PS3_
    .private_segment_fixed_size: 0
    .sgpr_count:     23
    .sgpr_spill_count: 0
    .symbol:         _ZN9rocsparseL42csr2bsr_nnz_block_per_row_multipass_kernelILj256ELj32EliEEvT2_S1_S1_S1_S1_21rocsparse_index_base_PKT1_PKS1_S2_PS3_.kd
    .uniform_work_group_size: 1
    .uses_dynamic_stack: false
    .vgpr_count:     26
    .vgpr_spill_count: 0
    .wavefront_size: 32
    .workgroup_processor_mode: 1
  - .args:
      - .offset:         0
        .size:           4
        .value_kind:     by_value
      - .offset:         4
        .size:           4
        .value_kind:     by_value
      - .offset:         8
        .size:           4
        .value_kind:     by_value
      - .offset:         12
        .size:           4
        .value_kind:     by_value
      - .offset:         16
        .size:           4
        .value_kind:     by_value
      - .offset:         20
        .size:           4
        .value_kind:     by_value
      - .actual_access:  read_only
        .address_space:  global
        .offset:         24
        .size:           8
        .value_kind:     global_buffer
      - .actual_access:  read_only
        .address_space:  global
        .offset:         32
        .size:           8
        .value_kind:     global_buffer
      - .offset:         40
        .size:           4
        .value_kind:     by_value
      - .actual_access:  write_only
        .address_space:  global
        .offset:         48
        .size:           8
        .value_kind:     global_buffer
    .group_segment_fixed_size: 1032
    .kernarg_segment_align: 8
    .kernarg_segment_size: 56
    .language:       OpenCL C
    .language_version:
      - 2
      - 0
    .max_flat_workgroup_size: 256
    .name:           _ZN9rocsparseL42csr2bsr_nnz_block_per_row_multipass_kernelILj256ELj64EliEEvT2_S1_S1_S1_S1_21rocsparse_index_base_PKT1_PKS1_S2_PS3_
    .private_segment_fixed_size: 0
    .sgpr_count:     23
    .sgpr_spill_count: 0
    .symbol:         _ZN9rocsparseL42csr2bsr_nnz_block_per_row_multipass_kernelILj256ELj64EliEEvT2_S1_S1_S1_S1_21rocsparse_index_base_PKT1_PKS1_S2_PS3_.kd
    .uniform_work_group_size: 1
    .uses_dynamic_stack: false
    .vgpr_count:     25
    .vgpr_spill_count: 0
    .wavefront_size: 32
    .workgroup_processor_mode: 1
  - .args:
      - .offset:         0
        .size:           4
        .value_kind:     by_value
      - .offset:         4
        .size:           4
        .value_kind:     by_value
      - .offset:         8
        .size:           4
        .value_kind:     by_value
      - .offset:         12
        .size:           4
        .value_kind:     by_value
      - .offset:         16
        .size:           4
        .value_kind:     by_value
      - .offset:         20
        .size:           4
        .value_kind:     by_value
      - .offset:         24
        .size:           4
        .value_kind:     by_value
      - .actual_access:  read_only
        .address_space:  global
        .offset:         32
        .size:           8
        .value_kind:     global_buffer
      - .actual_access:  read_only
        .address_space:  global
        .offset:         40
        .size:           8
        .value_kind:     global_buffer
      - .offset:         48
        .size:           4
        .value_kind:     by_value
      - .actual_access:  write_only
        .address_space:  global
        .offset:         56
        .size:           8
        .value_kind:     global_buffer
      - .address_space:  global
        .offset:         64
        .size:           8
        .value_kind:     global_buffer
    .group_segment_fixed_size: 0
    .kernarg_segment_align: 8
    .kernarg_segment_size: 72
    .language:       OpenCL C
    .language_version:
      - 2
      - 0
    .max_flat_workgroup_size: 32
    .name:           _ZN9rocsparseL25csr2bsr_nnz_65_inf_kernelILj32EliEEvT1_S1_S1_S1_S1_S1_21rocsparse_index_base_PKT0_PKS1_S2_PS3_S8_
    .private_segment_fixed_size: 0
    .sgpr_count:     27
    .sgpr_spill_count: 0
    .symbol:         _ZN9rocsparseL25csr2bsr_nnz_65_inf_kernelILj32EliEEvT1_S1_S1_S1_S1_S1_21rocsparse_index_base_PKT0_PKS1_S2_PS3_S8_.kd
    .uniform_work_group_size: 1
    .uses_dynamic_stack: false
    .vgpr_count:     28
    .vgpr_spill_count: 0
    .wavefront_size: 32
    .workgroup_processor_mode: 1
  - .args:
      - .offset:         0
        .size:           4
        .value_kind:     by_value
      - .actual_access:  read_only
        .address_space:  global
        .offset:         8
        .size:           8
        .value_kind:     global_buffer
      - .actual_access:  write_only
        .address_space:  global
        .offset:         16
        .size:           8
        .value_kind:     global_buffer
    .group_segment_fixed_size: 0
    .kernarg_segment_align: 8
    .kernarg_segment_size: 24
    .language:       OpenCL C
    .language_version:
      - 2
      - 0
    .max_flat_workgroup_size: 1
    .name:           _ZN9rocsparseL36csr2bsr_nnz_compute_nnz_total_kernelILj1EliEEvT1_PKT0_PS2_
    .private_segment_fixed_size: 0
    .sgpr_count:     8
    .sgpr_spill_count: 0
    .symbol:         _ZN9rocsparseL36csr2bsr_nnz_compute_nnz_total_kernelILj1EliEEvT1_PKT0_PS2_.kd
    .uniform_work_group_size: 1
    .uses_dynamic_stack: false
    .vgpr_count:     3
    .vgpr_spill_count: 0
    .wavefront_size: 32
    .workgroup_processor_mode: 1
  - .args:
      - .offset:         0
        .size:           8
        .value_kind:     by_value
      - .offset:         8
        .size:           4
        .value_kind:     by_value
      - .actual_access:  read_only
        .address_space:  global
        .offset:         16
        .size:           8
        .value_kind:     global_buffer
      - .offset:         24
        .size:           4
        .value_kind:     by_value
      - .actual_access:  write_only
        .address_space:  global
        .offset:         32
        .size:           8
        .value_kind:     global_buffer
      - .actual_access:  write_only
        .address_space:  global
        .offset:         40
        .size:           8
        .value_kind:     global_buffer
      - .offset:         48
        .size:           4
        .value_kind:     hidden_block_count_x
      - .offset:         52
        .size:           4
        .value_kind:     hidden_block_count_y
      - .offset:         56
        .size:           4
        .value_kind:     hidden_block_count_z
      - .offset:         60
        .size:           2
        .value_kind:     hidden_group_size_x
      - .offset:         62
        .size:           2
        .value_kind:     hidden_group_size_y
      - .offset:         64
        .size:           2
        .value_kind:     hidden_group_size_z
      - .offset:         66
        .size:           2
        .value_kind:     hidden_remainder_x
      - .offset:         68
        .size:           2
        .value_kind:     hidden_remainder_y
      - .offset:         70
        .size:           2
        .value_kind:     hidden_remainder_z
      - .offset:         88
        .size:           8
        .value_kind:     hidden_global_offset_x
      - .offset:         96
        .size:           8
        .value_kind:     hidden_global_offset_y
      - .offset:         104
        .size:           8
        .value_kind:     hidden_global_offset_z
      - .offset:         112
        .size:           2
        .value_kind:     hidden_grid_dims
    .group_segment_fixed_size: 0
    .kernarg_segment_align: 8
    .kernarg_segment_size: 304
    .language:       OpenCL C
    .language_version:
      - 2
      - 0
    .max_flat_workgroup_size: 256
    .name:           _ZN9rocsparseL39csr2bsr_nnz_block_dim_equals_one_kernelILj256EilEEvT1_21rocsparse_index_base_PKT0_S2_PS3_S6_
    .private_segment_fixed_size: 0
    .sgpr_count:     13
    .sgpr_spill_count: 0
    .symbol:         _ZN9rocsparseL39csr2bsr_nnz_block_dim_equals_one_kernelILj256EilEEvT1_21rocsparse_index_base_PKT0_S2_PS3_S6_.kd
    .uniform_work_group_size: 1
    .uses_dynamic_stack: false
    .vgpr_count:     5
    .vgpr_spill_count: 0
    .wavefront_size: 32
    .workgroup_processor_mode: 1
  - .args:
      - .offset:         0
        .size:           8
        .value_kind:     by_value
      - .offset:         8
        .size:           4
        .value_kind:     by_value
      - .actual_access:  read_only
        .address_space:  global
        .offset:         16
        .size:           8
        .value_kind:     global_buffer
      - .offset:         24
        .size:           4
        .value_kind:     by_value
      - .actual_access:  write_only
        .address_space:  global
        .offset:         32
        .size:           8
        .value_kind:     global_buffer
    .group_segment_fixed_size: 0
    .kernarg_segment_align: 8
    .kernarg_segment_size: 40
    .language:       OpenCL C
    .language_version:
      - 2
      - 0
    .max_flat_workgroup_size: 256
    .name:           _ZN9rocsparseL39csr2bsr_nnz_block_dim_equals_one_kernelILj256EilEEvT1_21rocsparse_index_base_PKT0_S2_PS3_
    .private_segment_fixed_size: 0
    .sgpr_count:     9
    .sgpr_spill_count: 0
    .symbol:         _ZN9rocsparseL39csr2bsr_nnz_block_dim_equals_one_kernelILj256EilEEvT1_21rocsparse_index_base_PKT0_S2_PS3_.kd
    .uniform_work_group_size: 1
    .uses_dynamic_stack: false
    .vgpr_count:     4
    .vgpr_spill_count: 0
    .wavefront_size: 32
    .workgroup_processor_mode: 1
  - .args:
      - .offset:         0
        .size:           8
        .value_kind:     by_value
      - .offset:         8
        .size:           8
        .value_kind:     by_value
      - .offset:         16
        .size:           8
        .value_kind:     by_value
      - .offset:         24
        .size:           8
        .value_kind:     by_value
      - .offset:         32
        .size:           8
        .value_kind:     by_value
      - .offset:         40
        .size:           4
        .value_kind:     by_value
      - .actual_access:  read_only
        .address_space:  global
        .offset:         48
        .size:           8
        .value_kind:     global_buffer
      - .actual_access:  read_only
        .address_space:  global
        .offset:         56
        .size:           8
        .value_kind:     global_buffer
      - .offset:         64
        .size:           4
        .value_kind:     by_value
      - .actual_access:  write_only
        .address_space:  global
        .offset:         72
        .size:           8
        .value_kind:     global_buffer
    .group_segment_fixed_size: 144
    .kernarg_segment_align: 8
    .kernarg_segment_size: 80
    .language:       OpenCL C
    .language_version:
      - 2
      - 0
    .max_flat_workgroup_size: 256
    .name:           _ZN9rocsparseL46csr2bsr_nnz_wavefront_per_row_multipass_kernelILj256ELj16ELj4EilEEvT3_S1_S1_S1_S1_21rocsparse_index_base_PKT2_PKS1_S2_PS3_
    .private_segment_fixed_size: 0
    .sgpr_count:     34
    .sgpr_spill_count: 0
    .symbol:         _ZN9rocsparseL46csr2bsr_nnz_wavefront_per_row_multipass_kernelILj256ELj16ELj4EilEEvT3_S1_S1_S1_S1_21rocsparse_index_base_PKT2_PKS1_S2_PS3_.kd
    .uniform_work_group_size: 1
    .uses_dynamic_stack: false
    .vgpr_count:     30
    .vgpr_spill_count: 0
    .wavefront_size: 32
    .workgroup_processor_mode: 1
  - .args:
      - .offset:         0
        .size:           8
        .value_kind:     by_value
      - .offset:         8
        .size:           8
        .value_kind:     by_value
      - .offset:         16
        .size:           8
        .value_kind:     by_value
      - .offset:         24
        .size:           8
        .value_kind:     by_value
      - .offset:         32
        .size:           8
        .value_kind:     by_value
      - .offset:         40
        .size:           4
        .value_kind:     by_value
      - .actual_access:  read_only
        .address_space:  global
        .offset:         48
        .size:           8
        .value_kind:     global_buffer
      - .actual_access:  read_only
        .address_space:  global
        .offset:         56
        .size:           8
        .value_kind:     global_buffer
      - .offset:         64
        .size:           4
        .value_kind:     by_value
      - .actual_access:  write_only
        .address_space:  global
        .offset:         72
        .size:           8
        .value_kind:     global_buffer
    .group_segment_fixed_size: 40
    .kernarg_segment_align: 8
    .kernarg_segment_size: 80
    .language:       OpenCL C
    .language_version:
      - 2
      - 0
    .max_flat_workgroup_size: 256
    .name:           _ZN9rocsparseL46csr2bsr_nnz_wavefront_per_row_multipass_kernelILj256ELj64ELj8EilEEvT3_S1_S1_S1_S1_21rocsparse_index_base_PKT2_PKS1_S2_PS3_
    .private_segment_fixed_size: 0
    .sgpr_count:     34
    .sgpr_spill_count: 0
    .symbol:         _ZN9rocsparseL46csr2bsr_nnz_wavefront_per_row_multipass_kernelILj256ELj64ELj8EilEEvT3_S1_S1_S1_S1_21rocsparse_index_base_PKT2_PKS1_S2_PS3_.kd
    .uniform_work_group_size: 1
    .uses_dynamic_stack: false
    .vgpr_count:     32
    .vgpr_spill_count: 0
    .wavefront_size: 32
    .workgroup_processor_mode: 1
  - .args:
      - .offset:         0
        .size:           8
        .value_kind:     by_value
      - .offset:         8
        .size:           8
        .value_kind:     by_value
      - .offset:         16
        .size:           8
        .value_kind:     by_value
      - .offset:         24
        .size:           8
        .value_kind:     by_value
      - .offset:         32
        .size:           8
        .value_kind:     by_value
      - .offset:         40
        .size:           4
        .value_kind:     by_value
      - .actual_access:  read_only
        .address_space:  global
        .offset:         48
        .size:           8
        .value_kind:     global_buffer
      - .actual_access:  read_only
        .address_space:  global
        .offset:         56
        .size:           8
        .value_kind:     global_buffer
      - .offset:         64
        .size:           4
        .value_kind:     by_value
      - .actual_access:  write_only
        .address_space:  global
        .offset:         72
        .size:           8
        .value_kind:     global_buffer
    .group_segment_fixed_size: 72
    .kernarg_segment_align: 8
    .kernarg_segment_size: 80
    .language:       OpenCL C
    .language_version:
      - 2
      - 0
    .max_flat_workgroup_size: 256
    .name:           _ZN9rocsparseL46csr2bsr_nnz_wavefront_per_row_multipass_kernelILj256ELj32ELj8EilEEvT3_S1_S1_S1_S1_21rocsparse_index_base_PKT2_PKS1_S2_PS3_
    .private_segment_fixed_size: 0
    .sgpr_count:     34
    .sgpr_spill_count: 0
    .symbol:         _ZN9rocsparseL46csr2bsr_nnz_wavefront_per_row_multipass_kernelILj256ELj32ELj8EilEEvT3_S1_S1_S1_S1_21rocsparse_index_base_PKT2_PKS1_S2_PS3_.kd
    .uniform_work_group_size: 1
    .uses_dynamic_stack: false
    .vgpr_count:     31
    .vgpr_spill_count: 0
    .wavefront_size: 32
    .workgroup_processor_mode: 1
  - .args:
      - .offset:         0
        .size:           8
        .value_kind:     by_value
      - .offset:         8
        .size:           8
        .value_kind:     by_value
      - .offset:         16
        .size:           8
        .value_kind:     by_value
      - .offset:         24
        .size:           8
        .value_kind:     by_value
      - .offset:         32
        .size:           8
        .value_kind:     by_value
      - .offset:         40
        .size:           4
        .value_kind:     by_value
      - .actual_access:  read_only
        .address_space:  global
        .offset:         48
        .size:           8
        .value_kind:     global_buffer
      - .actual_access:  read_only
        .address_space:  global
        .offset:         56
        .size:           8
        .value_kind:     global_buffer
      - .offset:         64
        .size:           4
        .value_kind:     by_value
      - .actual_access:  write_only
        .address_space:  global
        .offset:         72
        .size:           8
        .value_kind:     global_buffer
    .group_segment_fixed_size: 40
    .kernarg_segment_align: 8
    .kernarg_segment_size: 80
    .language:       OpenCL C
    .language_version:
      - 2
      - 0
    .max_flat_workgroup_size: 256
    .name:           _ZN9rocsparseL46csr2bsr_nnz_wavefront_per_row_multipass_kernelILj256ELj64ELj16EilEEvT3_S1_S1_S1_S1_21rocsparse_index_base_PKT2_PKS1_S2_PS3_
    .private_segment_fixed_size: 0
    .sgpr_count:     34
    .sgpr_spill_count: 0
    .symbol:         _ZN9rocsparseL46csr2bsr_nnz_wavefront_per_row_multipass_kernelILj256ELj64ELj16EilEEvT3_S1_S1_S1_S1_21rocsparse_index_base_PKT2_PKS1_S2_PS3_.kd
    .uniform_work_group_size: 1
    .uses_dynamic_stack: false
    .vgpr_count:     32
    .vgpr_spill_count: 0
    .wavefront_size: 32
    .workgroup_processor_mode: 1
  - .args:
      - .offset:         0
        .size:           8
        .value_kind:     by_value
      - .offset:         8
        .size:           8
        .value_kind:     by_value
      - .offset:         16
        .size:           8
        .value_kind:     by_value
      - .offset:         24
        .size:           8
        .value_kind:     by_value
      - .offset:         32
        .size:           8
        .value_kind:     by_value
      - .offset:         40
        .size:           4
        .value_kind:     by_value
      - .actual_access:  read_only
        .address_space:  global
        .offset:         48
        .size:           8
        .value_kind:     global_buffer
      - .actual_access:  read_only
        .address_space:  global
        .offset:         56
        .size:           8
        .value_kind:     global_buffer
      - .offset:         64
        .size:           4
        .value_kind:     by_value
      - .actual_access:  write_only
        .address_space:  global
        .offset:         72
        .size:           8
        .value_kind:     global_buffer
    .group_segment_fixed_size: 72
    .kernarg_segment_align: 8
    .kernarg_segment_size: 80
    .language:       OpenCL C
    .language_version:
      - 2
      - 0
    .max_flat_workgroup_size: 256
    .name:           _ZN9rocsparseL46csr2bsr_nnz_wavefront_per_row_multipass_kernelILj256ELj32ELj16EilEEvT3_S1_S1_S1_S1_21rocsparse_index_base_PKT2_PKS1_S2_PS3_
    .private_segment_fixed_size: 0
    .sgpr_count:     34
    .sgpr_spill_count: 0
    .symbol:         _ZN9rocsparseL46csr2bsr_nnz_wavefront_per_row_multipass_kernelILj256ELj32ELj16EilEEvT3_S1_S1_S1_S1_21rocsparse_index_base_PKT2_PKS1_S2_PS3_.kd
    .uniform_work_group_size: 1
    .uses_dynamic_stack: false
    .vgpr_count:     31
    .vgpr_spill_count: 0
    .wavefront_size: 32
    .workgroup_processor_mode: 1
  - .args:
      - .offset:         0
        .size:           8
        .value_kind:     by_value
      - .offset:         8
        .size:           8
        .value_kind:     by_value
      - .offset:         16
        .size:           8
        .value_kind:     by_value
      - .offset:         24
        .size:           8
        .value_kind:     by_value
      - .offset:         32
        .size:           8
        .value_kind:     by_value
      - .offset:         40
        .size:           4
        .value_kind:     by_value
      - .actual_access:  read_only
        .address_space:  global
        .offset:         48
        .size:           8
        .value_kind:     global_buffer
      - .actual_access:  read_only
        .address_space:  global
        .offset:         56
        .size:           8
        .value_kind:     global_buffer
      - .offset:         64
        .size:           4
        .value_kind:     by_value
      - .actual_access:  write_only
        .address_space:  global
        .offset:         72
        .size:           8
        .value_kind:     global_buffer
    .group_segment_fixed_size: 2064
    .kernarg_segment_align: 8
    .kernarg_segment_size: 80
    .language:       OpenCL C
    .language_version:
      - 2
      - 0
    .max_flat_workgroup_size: 256
    .name:           _ZN9rocsparseL42csr2bsr_nnz_block_per_row_multipass_kernelILj256ELj32EilEEvT2_S1_S1_S1_S1_21rocsparse_index_base_PKT1_PKS1_S2_PS3_
    .private_segment_fixed_size: 0
    .sgpr_count:     40
    .sgpr_spill_count: 0
    .symbol:         _ZN9rocsparseL42csr2bsr_nnz_block_per_row_multipass_kernelILj256ELj32EilEEvT2_S1_S1_S1_S1_21rocsparse_index_base_PKT1_PKS1_S2_PS3_.kd
    .uniform_work_group_size: 1
    .uses_dynamic_stack: false
    .vgpr_count:     28
    .vgpr_spill_count: 0
    .wavefront_size: 32
    .workgroup_processor_mode: 1
  - .args:
      - .offset:         0
        .size:           8
        .value_kind:     by_value
      - .offset:         8
        .size:           8
        .value_kind:     by_value
      - .offset:         16
        .size:           8
        .value_kind:     by_value
      - .offset:         24
        .size:           8
        .value_kind:     by_value
      - .offset:         32
        .size:           8
        .value_kind:     by_value
      - .offset:         40
        .size:           4
        .value_kind:     by_value
      - .actual_access:  read_only
        .address_space:  global
        .offset:         48
        .size:           8
        .value_kind:     global_buffer
      - .actual_access:  read_only
        .address_space:  global
        .offset:         56
        .size:           8
        .value_kind:     global_buffer
      - .offset:         64
        .size:           4
        .value_kind:     by_value
      - .actual_access:  write_only
        .address_space:  global
        .offset:         72
        .size:           8
        .value_kind:     global_buffer
    .group_segment_fixed_size: 2064
    .kernarg_segment_align: 8
    .kernarg_segment_size: 80
    .language:       OpenCL C
    .language_version:
      - 2
      - 0
    .max_flat_workgroup_size: 256
    .name:           _ZN9rocsparseL42csr2bsr_nnz_block_per_row_multipass_kernelILj256ELj64EilEEvT2_S1_S1_S1_S1_21rocsparse_index_base_PKT1_PKS1_S2_PS3_
    .private_segment_fixed_size: 0
    .sgpr_count:     39
    .sgpr_spill_count: 0
    .symbol:         _ZN9rocsparseL42csr2bsr_nnz_block_per_row_multipass_kernelILj256ELj64EilEEvT2_S1_S1_S1_S1_21rocsparse_index_base_PKT1_PKS1_S2_PS3_.kd
    .uniform_work_group_size: 1
    .uses_dynamic_stack: false
    .vgpr_count:     27
    .vgpr_spill_count: 0
    .wavefront_size: 32
    .workgroup_processor_mode: 1
  - .args:
      - .offset:         0
        .size:           8
        .value_kind:     by_value
      - .offset:         8
        .size:           8
        .value_kind:     by_value
      - .offset:         16
        .size:           8
        .value_kind:     by_value
      - .offset:         24
        .size:           8
        .value_kind:     by_value
      - .offset:         32
        .size:           8
        .value_kind:     by_value
      - .offset:         40
        .size:           8
        .value_kind:     by_value
      - .offset:         48
        .size:           4
        .value_kind:     by_value
      - .actual_access:  read_only
        .address_space:  global
        .offset:         56
        .size:           8
        .value_kind:     global_buffer
      - .actual_access:  read_only
        .address_space:  global
        .offset:         64
        .size:           8
        .value_kind:     global_buffer
      - .offset:         72
        .size:           4
        .value_kind:     by_value
      - .actual_access:  write_only
        .address_space:  global
        .offset:         80
        .size:           8
        .value_kind:     global_buffer
      - .address_space:  global
        .offset:         88
        .size:           8
        .value_kind:     global_buffer
    .group_segment_fixed_size: 0
    .kernarg_segment_align: 8
    .kernarg_segment_size: 96
    .language:       OpenCL C
    .language_version:
      - 2
      - 0
    .max_flat_workgroup_size: 32
    .name:           _ZN9rocsparseL25csr2bsr_nnz_65_inf_kernelILj32EilEEvT1_S1_S1_S1_S1_S1_21rocsparse_index_base_PKT0_PKS1_S2_PS3_S8_
    .private_segment_fixed_size: 0
    .sgpr_count:     45
    .sgpr_spill_count: 0
    .symbol:         _ZN9rocsparseL25csr2bsr_nnz_65_inf_kernelILj32EilEEvT1_S1_S1_S1_S1_S1_21rocsparse_index_base_PKT0_PKS1_S2_PS3_S8_.kd
    .uniform_work_group_size: 1
    .uses_dynamic_stack: false
    .vgpr_count:     34
    .vgpr_spill_count: 0
    .wavefront_size: 32
    .workgroup_processor_mode: 1
  - .args:
      - .offset:         0
        .size:           8
        .value_kind:     by_value
      - .actual_access:  read_only
        .address_space:  global
        .offset:         8
        .size:           8
        .value_kind:     global_buffer
      - .actual_access:  write_only
        .address_space:  global
        .offset:         16
        .size:           8
        .value_kind:     global_buffer
    .group_segment_fixed_size: 0
    .kernarg_segment_align: 8
    .kernarg_segment_size: 24
    .language:       OpenCL C
    .language_version:
      - 2
      - 0
    .max_flat_workgroup_size: 1
    .name:           _ZN9rocsparseL36csr2bsr_nnz_compute_nnz_total_kernelILj1EilEEvT1_PKT0_PS2_
    .private_segment_fixed_size: 0
    .sgpr_count:     7
    .sgpr_spill_count: 0
    .symbol:         _ZN9rocsparseL36csr2bsr_nnz_compute_nnz_total_kernelILj1EilEEvT1_PKT0_PS2_.kd
    .uniform_work_group_size: 1
    .uses_dynamic_stack: false
    .vgpr_count:     2
    .vgpr_spill_count: 0
    .wavefront_size: 32
    .workgroup_processor_mode: 1
  - .args:
      - .offset:         0
        .size:           8
        .value_kind:     by_value
      - .offset:         8
        .size:           4
        .value_kind:     by_value
      - .actual_access:  read_only
        .address_space:  global
        .offset:         16
        .size:           8
        .value_kind:     global_buffer
      - .offset:         24
        .size:           4
        .value_kind:     by_value
      - .actual_access:  write_only
        .address_space:  global
        .offset:         32
        .size:           8
        .value_kind:     global_buffer
      - .actual_access:  write_only
        .address_space:  global
        .offset:         40
        .size:           8
        .value_kind:     global_buffer
      - .offset:         48
        .size:           4
        .value_kind:     hidden_block_count_x
      - .offset:         52
        .size:           4
        .value_kind:     hidden_block_count_y
      - .offset:         56
        .size:           4
        .value_kind:     hidden_block_count_z
      - .offset:         60
        .size:           2
        .value_kind:     hidden_group_size_x
      - .offset:         62
        .size:           2
        .value_kind:     hidden_group_size_y
      - .offset:         64
        .size:           2
        .value_kind:     hidden_group_size_z
      - .offset:         66
        .size:           2
        .value_kind:     hidden_remainder_x
      - .offset:         68
        .size:           2
        .value_kind:     hidden_remainder_y
      - .offset:         70
        .size:           2
        .value_kind:     hidden_remainder_z
      - .offset:         88
        .size:           8
        .value_kind:     hidden_global_offset_x
      - .offset:         96
        .size:           8
        .value_kind:     hidden_global_offset_y
      - .offset:         104
        .size:           8
        .value_kind:     hidden_global_offset_z
      - .offset:         112
        .size:           2
        .value_kind:     hidden_grid_dims
    .group_segment_fixed_size: 0
    .kernarg_segment_align: 8
    .kernarg_segment_size: 304
    .language:       OpenCL C
    .language_version:
      - 2
      - 0
    .max_flat_workgroup_size: 256
    .name:           _ZN9rocsparseL39csr2bsr_nnz_block_dim_equals_one_kernelILj256EllEEvT1_21rocsparse_index_base_PKT0_S2_PS3_S6_
    .private_segment_fixed_size: 0
    .sgpr_count:     13
    .sgpr_spill_count: 0
    .symbol:         _ZN9rocsparseL39csr2bsr_nnz_block_dim_equals_one_kernelILj256EllEEvT1_21rocsparse_index_base_PKT0_S2_PS3_S6_.kd
    .uniform_work_group_size: 1
    .uses_dynamic_stack: false
    .vgpr_count:     5
    .vgpr_spill_count: 0
    .wavefront_size: 32
    .workgroup_processor_mode: 1
  - .args:
      - .offset:         0
        .size:           8
        .value_kind:     by_value
      - .offset:         8
        .size:           4
        .value_kind:     by_value
      - .actual_access:  read_only
        .address_space:  global
        .offset:         16
        .size:           8
        .value_kind:     global_buffer
      - .offset:         24
        .size:           4
        .value_kind:     by_value
      - .actual_access:  write_only
        .address_space:  global
        .offset:         32
        .size:           8
        .value_kind:     global_buffer
    .group_segment_fixed_size: 0
    .kernarg_segment_align: 8
    .kernarg_segment_size: 40
    .language:       OpenCL C
    .language_version:
      - 2
      - 0
    .max_flat_workgroup_size: 256
    .name:           _ZN9rocsparseL39csr2bsr_nnz_block_dim_equals_one_kernelILj256EllEEvT1_21rocsparse_index_base_PKT0_S2_PS3_
    .private_segment_fixed_size: 0
    .sgpr_count:     9
    .sgpr_spill_count: 0
    .symbol:         _ZN9rocsparseL39csr2bsr_nnz_block_dim_equals_one_kernelILj256EllEEvT1_21rocsparse_index_base_PKT0_S2_PS3_.kd
    .uniform_work_group_size: 1
    .uses_dynamic_stack: false
    .vgpr_count:     4
    .vgpr_spill_count: 0
    .wavefront_size: 32
    .workgroup_processor_mode: 1
  - .args:
      - .offset:         0
        .size:           8
        .value_kind:     by_value
      - .offset:         8
        .size:           8
        .value_kind:     by_value
      - .offset:         16
        .size:           8
        .value_kind:     by_value
      - .offset:         24
        .size:           8
        .value_kind:     by_value
      - .offset:         32
        .size:           8
        .value_kind:     by_value
      - .offset:         40
        .size:           4
        .value_kind:     by_value
      - .actual_access:  read_only
        .address_space:  global
        .offset:         48
        .size:           8
        .value_kind:     global_buffer
      - .actual_access:  read_only
        .address_space:  global
        .offset:         56
        .size:           8
        .value_kind:     global_buffer
      - .offset:         64
        .size:           4
        .value_kind:     by_value
      - .actual_access:  write_only
        .address_space:  global
        .offset:         72
        .size:           8
        .value_kind:     global_buffer
    .group_segment_fixed_size: 144
    .kernarg_segment_align: 8
    .kernarg_segment_size: 80
    .language:       OpenCL C
    .language_version:
      - 2
      - 0
    .max_flat_workgroup_size: 256
    .name:           _ZN9rocsparseL46csr2bsr_nnz_wavefront_per_row_multipass_kernelILj256ELj16ELj4EllEEvT3_S1_S1_S1_S1_21rocsparse_index_base_PKT2_PKS1_S2_PS3_
    .private_segment_fixed_size: 0
    .sgpr_count:     34
    .sgpr_spill_count: 0
    .symbol:         _ZN9rocsparseL46csr2bsr_nnz_wavefront_per_row_multipass_kernelILj256ELj16ELj4EllEEvT3_S1_S1_S1_S1_21rocsparse_index_base_PKT2_PKS1_S2_PS3_.kd
    .uniform_work_group_size: 1
    .uses_dynamic_stack: false
    .vgpr_count:     35
    .vgpr_spill_count: 0
    .wavefront_size: 32
    .workgroup_processor_mode: 1
  - .args:
      - .offset:         0
        .size:           8
        .value_kind:     by_value
      - .offset:         8
        .size:           8
        .value_kind:     by_value
      - .offset:         16
        .size:           8
        .value_kind:     by_value
      - .offset:         24
        .size:           8
        .value_kind:     by_value
      - .offset:         32
        .size:           8
        .value_kind:     by_value
      - .offset:         40
        .size:           4
        .value_kind:     by_value
      - .actual_access:  read_only
        .address_space:  global
        .offset:         48
        .size:           8
        .value_kind:     global_buffer
      - .actual_access:  read_only
        .address_space:  global
        .offset:         56
        .size:           8
        .value_kind:     global_buffer
      - .offset:         64
        .size:           4
        .value_kind:     by_value
      - .actual_access:  write_only
        .address_space:  global
        .offset:         72
        .size:           8
        .value_kind:     global_buffer
    .group_segment_fixed_size: 40
    .kernarg_segment_align: 8
    .kernarg_segment_size: 80
    .language:       OpenCL C
    .language_version:
      - 2
      - 0
    .max_flat_workgroup_size: 256
    .name:           _ZN9rocsparseL46csr2bsr_nnz_wavefront_per_row_multipass_kernelILj256ELj64ELj8EllEEvT3_S1_S1_S1_S1_21rocsparse_index_base_PKT2_PKS1_S2_PS3_
    .private_segment_fixed_size: 0
    .sgpr_count:     34
    .sgpr_spill_count: 0
    .symbol:         _ZN9rocsparseL46csr2bsr_nnz_wavefront_per_row_multipass_kernelILj256ELj64ELj8EllEEvT3_S1_S1_S1_S1_21rocsparse_index_base_PKT2_PKS1_S2_PS3_.kd
    .uniform_work_group_size: 1
    .uses_dynamic_stack: false
    .vgpr_count:     37
    .vgpr_spill_count: 0
    .wavefront_size: 32
    .workgroup_processor_mode: 1
  - .args:
      - .offset:         0
        .size:           8
        .value_kind:     by_value
      - .offset:         8
        .size:           8
        .value_kind:     by_value
      - .offset:         16
        .size:           8
        .value_kind:     by_value
      - .offset:         24
        .size:           8
        .value_kind:     by_value
      - .offset:         32
        .size:           8
        .value_kind:     by_value
      - .offset:         40
        .size:           4
        .value_kind:     by_value
      - .actual_access:  read_only
        .address_space:  global
        .offset:         48
        .size:           8
        .value_kind:     global_buffer
      - .actual_access:  read_only
        .address_space:  global
        .offset:         56
        .size:           8
        .value_kind:     global_buffer
      - .offset:         64
        .size:           4
        .value_kind:     by_value
      - .actual_access:  write_only
        .address_space:  global
        .offset:         72
        .size:           8
        .value_kind:     global_buffer
    .group_segment_fixed_size: 72
    .kernarg_segment_align: 8
    .kernarg_segment_size: 80
    .language:       OpenCL C
    .language_version:
      - 2
      - 0
    .max_flat_workgroup_size: 256
    .name:           _ZN9rocsparseL46csr2bsr_nnz_wavefront_per_row_multipass_kernelILj256ELj32ELj8EllEEvT3_S1_S1_S1_S1_21rocsparse_index_base_PKT2_PKS1_S2_PS3_
    .private_segment_fixed_size: 0
    .sgpr_count:     34
    .sgpr_spill_count: 0
    .symbol:         _ZN9rocsparseL46csr2bsr_nnz_wavefront_per_row_multipass_kernelILj256ELj32ELj8EllEEvT3_S1_S1_S1_S1_21rocsparse_index_base_PKT2_PKS1_S2_PS3_.kd
    .uniform_work_group_size: 1
    .uses_dynamic_stack: false
    .vgpr_count:     36
    .vgpr_spill_count: 0
    .wavefront_size: 32
    .workgroup_processor_mode: 1
  - .args:
      - .offset:         0
        .size:           8
        .value_kind:     by_value
      - .offset:         8
        .size:           8
        .value_kind:     by_value
      - .offset:         16
        .size:           8
        .value_kind:     by_value
      - .offset:         24
        .size:           8
        .value_kind:     by_value
      - .offset:         32
        .size:           8
        .value_kind:     by_value
      - .offset:         40
        .size:           4
        .value_kind:     by_value
      - .actual_access:  read_only
        .address_space:  global
        .offset:         48
        .size:           8
        .value_kind:     global_buffer
      - .actual_access:  read_only
        .address_space:  global
        .offset:         56
        .size:           8
        .value_kind:     global_buffer
      - .offset:         64
        .size:           4
        .value_kind:     by_value
      - .actual_access:  write_only
        .address_space:  global
        .offset:         72
        .size:           8
        .value_kind:     global_buffer
    .group_segment_fixed_size: 40
    .kernarg_segment_align: 8
    .kernarg_segment_size: 80
    .language:       OpenCL C
    .language_version:
      - 2
      - 0
    .max_flat_workgroup_size: 256
    .name:           _ZN9rocsparseL46csr2bsr_nnz_wavefront_per_row_multipass_kernelILj256ELj64ELj16EllEEvT3_S1_S1_S1_S1_21rocsparse_index_base_PKT2_PKS1_S2_PS3_
    .private_segment_fixed_size: 0
    .sgpr_count:     34
    .sgpr_spill_count: 0
    .symbol:         _ZN9rocsparseL46csr2bsr_nnz_wavefront_per_row_multipass_kernelILj256ELj64ELj16EllEEvT3_S1_S1_S1_S1_21rocsparse_index_base_PKT2_PKS1_S2_PS3_.kd
    .uniform_work_group_size: 1
    .uses_dynamic_stack: false
    .vgpr_count:     37
    .vgpr_spill_count: 0
    .wavefront_size: 32
    .workgroup_processor_mode: 1
  - .args:
      - .offset:         0
        .size:           8
        .value_kind:     by_value
      - .offset:         8
        .size:           8
        .value_kind:     by_value
      - .offset:         16
        .size:           8
        .value_kind:     by_value
      - .offset:         24
        .size:           8
        .value_kind:     by_value
      - .offset:         32
        .size:           8
        .value_kind:     by_value
      - .offset:         40
        .size:           4
        .value_kind:     by_value
      - .actual_access:  read_only
        .address_space:  global
        .offset:         48
        .size:           8
        .value_kind:     global_buffer
      - .actual_access:  read_only
        .address_space:  global
        .offset:         56
        .size:           8
        .value_kind:     global_buffer
      - .offset:         64
        .size:           4
        .value_kind:     by_value
      - .actual_access:  write_only
        .address_space:  global
        .offset:         72
        .size:           8
        .value_kind:     global_buffer
    .group_segment_fixed_size: 72
    .kernarg_segment_align: 8
    .kernarg_segment_size: 80
    .language:       OpenCL C
    .language_version:
      - 2
      - 0
    .max_flat_workgroup_size: 256
    .name:           _ZN9rocsparseL46csr2bsr_nnz_wavefront_per_row_multipass_kernelILj256ELj32ELj16EllEEvT3_S1_S1_S1_S1_21rocsparse_index_base_PKT2_PKS1_S2_PS3_
    .private_segment_fixed_size: 0
    .sgpr_count:     34
    .sgpr_spill_count: 0
    .symbol:         _ZN9rocsparseL46csr2bsr_nnz_wavefront_per_row_multipass_kernelILj256ELj32ELj16EllEEvT3_S1_S1_S1_S1_21rocsparse_index_base_PKT2_PKS1_S2_PS3_.kd
    .uniform_work_group_size: 1
    .uses_dynamic_stack: false
    .vgpr_count:     36
    .vgpr_spill_count: 0
    .wavefront_size: 32
    .workgroup_processor_mode: 1
  - .args:
      - .offset:         0
        .size:           8
        .value_kind:     by_value
      - .offset:         8
        .size:           8
        .value_kind:     by_value
      - .offset:         16
        .size:           8
        .value_kind:     by_value
      - .offset:         24
        .size:           8
        .value_kind:     by_value
      - .offset:         32
        .size:           8
        .value_kind:     by_value
      - .offset:         40
        .size:           4
        .value_kind:     by_value
      - .actual_access:  read_only
        .address_space:  global
        .offset:         48
        .size:           8
        .value_kind:     global_buffer
      - .actual_access:  read_only
        .address_space:  global
        .offset:         56
        .size:           8
        .value_kind:     global_buffer
      - .offset:         64
        .size:           4
        .value_kind:     by_value
      - .actual_access:  write_only
        .address_space:  global
        .offset:         72
        .size:           8
        .value_kind:     global_buffer
    .group_segment_fixed_size: 2064
    .kernarg_segment_align: 8
    .kernarg_segment_size: 80
    .language:       OpenCL C
    .language_version:
      - 2
      - 0
    .max_flat_workgroup_size: 256
    .name:           _ZN9rocsparseL42csr2bsr_nnz_block_per_row_multipass_kernelILj256ELj32EllEEvT2_S1_S1_S1_S1_21rocsparse_index_base_PKT1_PKS1_S2_PS3_
    .private_segment_fixed_size: 0
    .sgpr_count:     40
    .sgpr_spill_count: 0
    .symbol:         _ZN9rocsparseL42csr2bsr_nnz_block_per_row_multipass_kernelILj256ELj32EllEEvT2_S1_S1_S1_S1_21rocsparse_index_base_PKT1_PKS1_S2_PS3_.kd
    .uniform_work_group_size: 1
    .uses_dynamic_stack: false
    .vgpr_count:     32
    .vgpr_spill_count: 0
    .wavefront_size: 32
    .workgroup_processor_mode: 1
  - .args:
      - .offset:         0
        .size:           8
        .value_kind:     by_value
      - .offset:         8
        .size:           8
        .value_kind:     by_value
      - .offset:         16
        .size:           8
        .value_kind:     by_value
      - .offset:         24
        .size:           8
        .value_kind:     by_value
      - .offset:         32
        .size:           8
        .value_kind:     by_value
      - .offset:         40
        .size:           4
        .value_kind:     by_value
      - .actual_access:  read_only
        .address_space:  global
        .offset:         48
        .size:           8
        .value_kind:     global_buffer
      - .actual_access:  read_only
        .address_space:  global
        .offset:         56
        .size:           8
        .value_kind:     global_buffer
      - .offset:         64
        .size:           4
        .value_kind:     by_value
      - .actual_access:  write_only
        .address_space:  global
        .offset:         72
        .size:           8
        .value_kind:     global_buffer
    .group_segment_fixed_size: 2064
    .kernarg_segment_align: 8
    .kernarg_segment_size: 80
    .language:       OpenCL C
    .language_version:
      - 2
      - 0
    .max_flat_workgroup_size: 256
    .name:           _ZN9rocsparseL42csr2bsr_nnz_block_per_row_multipass_kernelILj256ELj64EllEEvT2_S1_S1_S1_S1_21rocsparse_index_base_PKT1_PKS1_S2_PS3_
    .private_segment_fixed_size: 0
    .sgpr_count:     40
    .sgpr_spill_count: 0
    .symbol:         _ZN9rocsparseL42csr2bsr_nnz_block_per_row_multipass_kernelILj256ELj64EllEEvT2_S1_S1_S1_S1_21rocsparse_index_base_PKT1_PKS1_S2_PS3_.kd
    .uniform_work_group_size: 1
    .uses_dynamic_stack: false
    .vgpr_count:     31
    .vgpr_spill_count: 0
    .wavefront_size: 32
    .workgroup_processor_mode: 1
  - .args:
      - .offset:         0
        .size:           8
        .value_kind:     by_value
      - .offset:         8
        .size:           8
        .value_kind:     by_value
      - .offset:         16
        .size:           8
        .value_kind:     by_value
      - .offset:         24
        .size:           8
        .value_kind:     by_value
      - .offset:         32
        .size:           8
        .value_kind:     by_value
      - .offset:         40
        .size:           8
        .value_kind:     by_value
      - .offset:         48
        .size:           4
        .value_kind:     by_value
      - .actual_access:  read_only
        .address_space:  global
        .offset:         56
        .size:           8
        .value_kind:     global_buffer
      - .actual_access:  read_only
        .address_space:  global
        .offset:         64
        .size:           8
        .value_kind:     global_buffer
      - .offset:         72
        .size:           4
        .value_kind:     by_value
      - .actual_access:  write_only
        .address_space:  global
        .offset:         80
        .size:           8
        .value_kind:     global_buffer
      - .address_space:  global
        .offset:         88
        .size:           8
        .value_kind:     global_buffer
    .group_segment_fixed_size: 0
    .kernarg_segment_align: 8
    .kernarg_segment_size: 96
    .language:       OpenCL C
    .language_version:
      - 2
      - 0
    .max_flat_workgroup_size: 32
    .name:           _ZN9rocsparseL25csr2bsr_nnz_65_inf_kernelILj32EllEEvT1_S1_S1_S1_S1_S1_21rocsparse_index_base_PKT0_PKS1_S2_PS3_S8_
    .private_segment_fixed_size: 0
    .sgpr_count:     45
    .sgpr_spill_count: 0
    .symbol:         _ZN9rocsparseL25csr2bsr_nnz_65_inf_kernelILj32EllEEvT1_S1_S1_S1_S1_S1_21rocsparse_index_base_PKT0_PKS1_S2_PS3_S8_.kd
    .uniform_work_group_size: 1
    .uses_dynamic_stack: false
    .vgpr_count:     37
    .vgpr_spill_count: 0
    .wavefront_size: 32
    .workgroup_processor_mode: 1
  - .args:
      - .offset:         0
        .size:           8
        .value_kind:     by_value
      - .actual_access:  read_only
        .address_space:  global
        .offset:         8
        .size:           8
        .value_kind:     global_buffer
      - .actual_access:  write_only
        .address_space:  global
        .offset:         16
        .size:           8
        .value_kind:     global_buffer
    .group_segment_fixed_size: 0
    .kernarg_segment_align: 8
    .kernarg_segment_size: 24
    .language:       OpenCL C
    .language_version:
      - 2
      - 0
    .max_flat_workgroup_size: 1
    .name:           _ZN9rocsparseL36csr2bsr_nnz_compute_nnz_total_kernelILj1EllEEvT1_PKT0_PS2_
    .private_segment_fixed_size: 0
    .sgpr_count:     7
    .sgpr_spill_count: 0
    .symbol:         _ZN9rocsparseL36csr2bsr_nnz_compute_nnz_total_kernelILj1EllEEvT1_PKT0_PS2_.kd
    .uniform_work_group_size: 1
    .uses_dynamic_stack: false
    .vgpr_count:     3
    .vgpr_spill_count: 0
    .wavefront_size: 32
    .workgroup_processor_mode: 1
amdhsa.target:   amdgcn-amd-amdhsa--gfx1030
amdhsa.version:
  - 1
  - 2
...

	.end_amdgpu_metadata
